;; amdgpu-corpus repo=ROCm/rocFFT kind=compiled arch=gfx1201 opt=O3
	.text
	.amdgcn_target "amdgcn-amd-amdhsa--gfx1201"
	.amdhsa_code_object_version 6
	.protected	bluestein_single_back_len340_dim1_dp_op_CI_CI ; -- Begin function bluestein_single_back_len340_dim1_dp_op_CI_CI
	.globl	bluestein_single_back_len340_dim1_dp_op_CI_CI
	.p2align	8
	.type	bluestein_single_back_len340_dim1_dp_op_CI_CI,@function
bluestein_single_back_len340_dim1_dp_op_CI_CI: ; @bluestein_single_back_len340_dim1_dp_op_CI_CI
; %bb.0:
	s_load_b128 s[8:11], s[0:1], 0x28
	v_mul_u32_u24_e32 v1, 0x788, v0
	s_mov_b32 s2, exec_lo
	s_delay_alu instid0(VALU_DEP_1) | instskip(NEXT) | instid1(VALU_DEP_1)
	v_lshrrev_b32_e32 v1, 16, v1
	v_mad_co_u64_u32 v[3:4], null, ttmp9, 3, v[1:2]
	v_mov_b32_e32 v4, 0
                                        ; kill: def $vgpr2 killed $sgpr0 killed $exec
	s_wait_kmcnt 0x0
	s_delay_alu instid0(VALU_DEP_1)
	v_cmpx_gt_u64_e64 s[8:9], v[3:4]
	s_cbranch_execz .LBB0_15
; %bb.1:
	v_mul_hi_u32 v2, 0xaaaaaaab, v3
	v_mul_lo_u16 v1, v1, 34
	s_clause 0x1
	s_load_b64 s[8:9], s[0:1], 0x0
	s_load_b64 s[12:13], s[0:1], 0x38
	s_delay_alu instid0(VALU_DEP_1) | instskip(SKIP_1) | instid1(VALU_DEP_4)
	v_sub_nc_u16 v0, v0, v1
	v_mov_b32_e32 v1, v3
	v_lshrrev_b32_e32 v2, 1, v2
	s_delay_alu instid0(VALU_DEP_3) | instskip(NEXT) | instid1(VALU_DEP_2)
	v_cmp_gt_u16_e32 vcc_lo, 20, v0
	v_lshl_add_u32 v2, v2, 1, v2
	scratch_store_b64 off, v[1:2], off offset:4 ; 8-byte Folded Spill
	v_sub_nc_u32_e32 v1, v3, v2
	v_and_b32_e32 v2, 0xffff, v0
	s_delay_alu instid0(VALU_DEP_2) | instskip(NEXT) | instid1(VALU_DEP_2)
	v_mul_u32_u24_e32 v192, 0x154, v1
	v_lshlrev_b32_e32 v140, 4, v2
	v_or_b32_e32 v255, 0xa0, v2
	v_or_b32_e32 v191, 0x140, v2
	s_delay_alu instid0(VALU_DEP_4)
	v_lshlrev_b32_e32 v0, 4, v192
	s_clause 0x1
	scratch_store_b32 off, v0, off offset:12
	scratch_store_b32 off, v2, off
	s_and_saveexec_b32 s3, vcc_lo
	s_cbranch_execz .LBB0_3
; %bb.2:
	s_clause 0x1
	scratch_load_b64 v[0:1], off, off offset:4
	scratch_load_b32 v181, off, off
	s_load_b64 s[4:5], s[0:1], 0x18
	s_wait_kmcnt 0x0
	s_load_b128 s[4:7], s[4:5], 0x0
	s_wait_kmcnt 0x0
	v_mad_co_u64_u32 v[50:51], null, s4, v255, 0
	v_mad_co_u64_u32 v[58:59], null, s4, v191, 0
	s_wait_loadcnt 0x0
	v_mad_co_u64_u32 v[24:25], null, s4, v181, 0
	s_delay_alu instid0(VALU_DEP_1) | instskip(NEXT) | instid1(VALU_DEP_1)
	v_dual_mov_b32 v2, v0 :: v_dual_mov_b32 v1, v25
	v_mad_co_u64_u32 v[26:27], null, s6, v2, 0
	s_delay_alu instid0(VALU_DEP_2) | instskip(NEXT) | instid1(VALU_DEP_1)
	v_mad_co_u64_u32 v[28:29], null, s5, v181, v[1:2]
	v_dual_mov_b32 v0, v27 :: v_dual_mov_b32 v25, v28
	s_delay_alu instid0(VALU_DEP_1)
	v_mad_co_u64_u32 v[8:9], null, s7, v2, v[0:1]
	s_mul_u64 s[6:7], s[4:5], 0x140
	s_clause 0x1
	global_load_b128 v[4:7], v140, s[8:9]
	global_load_b128 v[0:3], v140, s[8:9] offset:320
	v_mov_b32_e32 v27, v8
	s_clause 0x3
	global_load_b128 v[12:15], v140, s[8:9] offset:640
	global_load_b128 v[8:11], v140, s[8:9] offset:960
	;; [unrolled: 1-line block ×4, first 2 shown]
	v_lshlrev_b64_e32 v[42:43], 4, v[26:27]
	s_clause 0x3
	global_load_b128 v[26:29], v140, s[8:9] offset:1920
	global_load_b128 v[30:33], v140, s[8:9] offset:2240
	global_load_b128 v[34:37], v140, s[8:9] offset:2560
	global_load_b128 v[38:41], v140, s[8:9] offset:2880
	v_add_co_u32 v64, s2, s10, v42
	v_mov_b32_e32 v42, v51
	v_lshlrev_b64_e32 v[24:25], 4, v[24:25]
	v_add_co_ci_u32_e64 v65, s2, s11, v43, s2
	s_delay_alu instid0(VALU_DEP_2) | instskip(SKIP_1) | instid1(VALU_DEP_2)
	v_add_co_u32 v24, s2, v64, v24
	s_wait_alu 0xf1ff
	v_add_co_ci_u32_e64 v25, s2, v65, v25, s2
	s_wait_alu 0xfffe
	s_delay_alu instid0(VALU_DEP_2) | instskip(SKIP_1) | instid1(VALU_DEP_2)
	v_add_co_u32 v74, s2, v24, s6
	s_wait_alu 0xf1ff
	v_add_co_ci_u32_e64 v75, s2, s7, v25, s2
	s_delay_alu instid0(VALU_DEP_2) | instskip(SKIP_1) | instid1(VALU_DEP_2)
	v_add_co_u32 v78, s2, v74, s6
	s_wait_alu 0xf1ff
	v_add_co_ci_u32_e64 v79, s2, s7, v75, s2
	;; [unrolled: 4-line block ×7, first 2 shown]
	s_delay_alu instid0(VALU_DEP_1) | instskip(NEXT) | instid1(VALU_DEP_1)
	v_mad_co_u64_u32 v[102:103], null, 0x280, s4, v[98:99]
	v_dual_mov_b32 v43, v59 :: v_dual_mov_b32 v66, v103
	s_delay_alu instid0(VALU_DEP_1) | instskip(NEXT) | instid1(VALU_DEP_1)
	v_mad_co_u64_u32 v[44:45], null, s5, v255, v[42:43]
	v_mad_co_u64_u32 v[52:53], null, s5, v191, v[43:44]
	v_mov_b32_e32 v51, v44
	s_clause 0x1
	global_load_b128 v[42:45], v140, s[8:9] offset:3200
	global_load_b128 v[46:49], v140, s[8:9] offset:3520
	v_lshlrev_b64_e32 v[60:61], 4, v[50:51]
	v_mov_b32_e32 v59, v52
	s_clause 0x1
	global_load_b128 v[50:53], v140, s[8:9] offset:3840
	global_load_b128 v[54:57], v140, s[8:9] offset:4160
	v_lshlrev_b64_e32 v[58:59], 4, v[58:59]
	v_add_co_u32 v62, s2, v64, v60
	s_wait_alu 0xf1ff
	v_add_co_ci_u32_e64 v63, s2, v65, v61, s2
	s_delay_alu instid0(VALU_DEP_3)
	v_add_co_u32 v67, s2, v64, v58
	s_wait_alu 0xf1ff
	v_add_co_ci_u32_e64 v68, s2, v65, v59, s2
	global_load_b128 v[58:61], v140, s[8:9] offset:5120
	global_load_b128 v[62:65], v[62:63], off
	v_mad_co_u64_u32 v[96:97], null, 0x280, s5, v[66:67]
	s_clause 0x5
	global_load_b128 v[66:69], v[67:68], off
	global_load_b128 v[70:73], v[24:25], off
	;; [unrolled: 1-line block ×7, first 2 shown]
	v_add_co_u32 v24, s2, v102, s6
	global_load_b128 v[98:101], v[98:99], off
	v_mov_b32_e32 v103, v96
	global_load_b128 v[94:97], v[94:95], off
	s_wait_alu 0xf1ff
	v_add_co_ci_u32_e64 v25, s2, s7, v103, s2
	v_add_co_u32 v110, s2, v24, s6
	global_load_b128 v[102:105], v[102:103], off
	s_wait_alu 0xf1ff
	v_add_co_ci_u32_e64 v111, s2, s7, v25, s2
	v_add_co_u32 v114, s2, v110, s6
	;; [unrolled: 4-line block ×5, first 2 shown]
	s_wait_alu 0xf1ff
	s_delay_alu instid0(VALU_DEP_2)
	v_add_co_ci_u32_e64 v135, s2, s7, v123, s2
	global_load_b128 v[118:121], v[24:25], off
	global_load_b128 v[122:125], v[122:123], off
	s_clause 0x1
	global_load_b128 v[126:129], v140, s[8:9] offset:4480
	global_load_b128 v[130:133], v140, s[8:9] offset:4800
	global_load_b128 v[134:137], v[134:135], off
	s_wait_loadcnt 0x10
	v_mul_f64_e32 v[24:25], v[72:73], v[6:7]
	v_mul_f64_e32 v[6:7], v[70:71], v[6:7]
	;; [unrolled: 1-line block ×4, first 2 shown]
	s_wait_loadcnt 0xf
	v_mul_f64_e32 v[143:144], v[76:77], v[2:3]
	v_mul_f64_e32 v[145:146], v[74:75], v[2:3]
	s_wait_loadcnt 0xe
	v_mul_f64_e32 v[147:148], v[80:81], v[14:15]
	v_mul_f64_e32 v[14:15], v[78:79], v[14:15]
	;; [unrolled: 3-line block ×5, first 2 shown]
	v_mul_f64_e32 v[141:142], v[68:69], v[60:61]
	s_wait_loadcnt 0x9
	v_mul_f64_e32 v[159:160], v[96:97], v[28:29]
	v_mul_f64_e32 v[28:29], v[94:95], v[28:29]
	v_mul_f64_e32 v[161:162], v[100:101], v[32:33]
	v_mul_f64_e32 v[163:164], v[98:99], v[32:33]
	v_mul_f64_e32 v[179:180], v[66:67], v[60:61]
	s_wait_loadcnt 0x8
	v_mul_f64_e32 v[165:166], v[104:105], v[40:41]
	v_mul_f64_e32 v[40:41], v[102:103], v[40:41]
	s_wait_loadcnt 0x7
	v_mul_f64_e32 v[167:168], v[108:109], v[44:45]
	v_mul_f64_e32 v[44:45], v[106:107], v[44:45]
	;; [unrolled: 3-line block ×4, first 2 shown]
	v_fma_f64 v[2:3], v[70:71], v[4:5], v[24:25]
	s_wait_loadcnt 0x4
	v_mul_f64_e32 v[173:174], v[120:121], v[56:57]
	v_mul_f64_e32 v[56:57], v[118:119], v[56:57]
	s_wait_loadcnt 0x2
	v_mul_f64_e32 v[175:176], v[124:125], v[128:129]
	v_mul_f64_e32 v[128:129], v[122:123], v[128:129]
	;; [unrolled: 3-line block ×3, first 2 shown]
	v_fma_f64 v[4:5], v[72:73], v[4:5], -v[6:7]
	v_fma_f64 v[22:23], v[62:63], v[34:35], v[138:139]
	v_fma_f64 v[24:25], v[64:65], v[34:35], -v[36:37]
	v_fma_f64 v[32:33], v[74:75], v[0:1], v[143:144]
	;; [unrolled: 2-line block ×7, first 2 shown]
	v_fma_f64 v[64:65], v[94:95], v[26:27], v[159:160]
	v_fma_f64 v[66:67], v[96:97], v[26:27], -v[28:29]
	v_fma_f64 v[26:27], v[98:99], v[30:31], v[161:162]
	v_fma_f64 v[28:29], v[100:101], v[30:31], -v[163:164]
	;; [unrolled: 2-line block ×4, first 2 shown]
	v_fma_f64 v[8:9], v[68:69], v[58:59], -v[179:180]
	v_fma_f64 v[44:45], v[110:111], v[46:47], v[169:170]
	v_fma_f64 v[46:47], v[112:113], v[46:47], -v[48:49]
	v_lshlrev_b32_e32 v1, 4, v192
	v_fma_f64 v[48:49], v[114:115], v[50:51], v[171:172]
	v_fma_f64 v[50:51], v[116:117], v[50:51], -v[52:53]
	s_delay_alu instid0(VALU_DEP_3)
	v_lshl_add_u32 v0, v181, 4, v1
	v_add_nc_u32_e32 v1, v1, v140
	v_fma_f64 v[52:53], v[118:119], v[54:55], v[173:174]
	v_fma_f64 v[54:55], v[120:121], v[54:55], -v[56:57]
	v_fma_f64 v[70:71], v[122:123], v[126:127], v[175:176]
	v_fma_f64 v[72:73], v[124:125], v[126:127], -v[128:129]
	;; [unrolled: 2-line block ×3, first 2 shown]
	ds_store_b128 v0, v[2:5]
	ds_store_b128 v1, v[32:35] offset:320
	ds_store_b128 v1, v[10:13] offset:640
	;; [unrolled: 1-line block ×16, first 2 shown]
.LBB0_3:
	s_or_b32 exec_lo, exec_lo, s3
	s_clause 0x1
	s_load_b64 s[4:5], s[0:1], 0x20
	s_load_b64 s[2:3], s[0:1], 0x8
	global_wb scope:SCOPE_SE
	s_wait_storecnt_dscnt 0x0
	s_wait_kmcnt 0x0
	s_barrier_signal -1
	s_barrier_wait -1
	global_inv scope:SCOPE_SE
                                        ; implicit-def: $vgpr28_vgpr29
                                        ; implicit-def: $vgpr48_vgpr49
                                        ; implicit-def: $vgpr52_vgpr53
                                        ; implicit-def: $vgpr56_vgpr57
                                        ; implicit-def: $vgpr60_vgpr61
                                        ; implicit-def: $vgpr64_vgpr65
                                        ; implicit-def: $vgpr68_vgpr69
                                        ; implicit-def: $vgpr72_vgpr73
                                        ; implicit-def: $vgpr80_vgpr81
                                        ; implicit-def: $vgpr84_vgpr85
                                        ; implicit-def: $vgpr88_vgpr89
                                        ; implicit-def: $vgpr92_vgpr93
                                        ; implicit-def: $vgpr76_vgpr77
                                        ; implicit-def: $vgpr44_vgpr45
                                        ; implicit-def: $vgpr40_vgpr41
                                        ; implicit-def: $vgpr36_vgpr37
                                        ; implicit-def: $vgpr32_vgpr33
	s_and_saveexec_b32 s0, vcc_lo
	s_cbranch_execz .LBB0_5
; %bb.4:
	v_lshl_add_u32 v0, v192, 4, v140
	ds_load_b128 v[28:31], v0
	ds_load_b128 v[48:51], v0 offset:320
	ds_load_b128 v[52:55], v0 offset:640
	;; [unrolled: 1-line block ×16, first 2 shown]
.LBB0_5:
	s_wait_alu 0xfffe
	s_or_b32 exec_lo, exec_lo, s0
	s_wait_dscnt 0x0
	v_add_f64_e64 v[141:142], v[50:51], -v[34:35]
	v_add_f64_e64 v[159:160], v[54:55], -v[38:39]
	s_mov_b32 s14, 0x5d8e7cdc
	s_mov_b32 s18, 0x2a9d6da3
	;; [unrolled: 1-line block ×4, first 2 shown]
	v_add_f64_e32 v[136:137], v[48:49], v[32:33]
	v_add_f64_e64 v[161:162], v[52:53], -v[36:37]
	s_mov_b32 s0, 0x370991
	s_mov_b32 s38, 0x4363dd80
	;; [unrolled: 1-line block ×6, first 2 shown]
	v_add_f64_e32 v[96:97], v[52:53], v[36:37]
	s_mov_b32 s6, 0x75d4884
	s_mov_b32 s7, 0x3fe7a5f6
	v_add_f64_e64 v[171:172], v[48:49], -v[32:33]
	v_add_f64_e32 v[165:166], v[50:51], v[34:35]
	v_add_f64_e32 v[100:101], v[54:55], v[38:39]
	v_add_f64_e64 v[163:164], v[58:59], -v[42:43]
	s_mov_b32 s28, 0x7c9e640b
	s_mov_b32 s29, 0xbfeca52d
	v_add_f64_e32 v[104:105], v[56:57], v[40:41]
	s_mov_b32 s10, 0x2b2883cd
	s_mov_b32 s30, 0xeb564b22
	;; [unrolled: 1-line block ×4, first 2 shown]
	v_add_f64_e64 v[169:170], v[56:57], -v[40:41]
	v_add_f64_e32 v[112:113], v[58:59], v[42:43]
	s_mov_b32 s36, 0x6c9a05f6
	s_mov_b32 s37, 0xbfe9895b
	v_add_f64_e64 v[173:174], v[62:63], -v[46:47]
	v_add_f64_e32 v[108:109], v[60:61], v[44:45]
	s_mov_b32 s16, 0x3259b75e
	s_mov_b32 s17, 0x3fb79ee6
	v_add_f64_e64 v[175:176], v[60:61], -v[44:45]
	v_add_f64_e32 v[120:121], v[62:63], v[46:47]
	v_mul_f64_e32 v[0:1], s[14:15], v[141:142]
	v_mul_f64_e32 v[2:3], s[18:19], v[159:160]
	v_mul_f64_e32 v[6:7], s[30:31], v[159:160]
	v_mul_f64_e32 v[10:11], s[36:37], v[159:160]
	v_add_f64_e64 v[177:178], v[66:67], -v[78:79]
	s_mov_b32 s34, 0x923c349f
	s_mov_b32 s35, 0xbfeec746
	v_mul_f64_e32 v[4:5], s[18:19], v[161:162]
	v_mul_f64_e32 v[20:21], s[48:49], v[161:162]
	;; [unrolled: 1-line block ×4, first 2 shown]
	v_add_f64_e32 v[116:117], v[64:65], v[76:77]
	s_mov_b32 s20, 0xc61f0d01
	s_mov_b32 s42, 0xacd6c6b4
	;; [unrolled: 1-line block ×4, first 2 shown]
	v_add_f64_e64 v[179:180], v[64:65], -v[76:77]
	v_mul_f64_e32 v[14:15], s[42:43], v[159:160]
	v_add_f64_e32 v[128:129], v[66:67], v[78:79]
	v_add_f64_e64 v[185:186], v[70:71], -v[94:95]
	v_mul_f64_e32 v[16:17], s[42:43], v[161:162]
	v_add_f64_e32 v[124:125], v[68:69], v[92:93]
	s_mov_b32 s22, 0x6ed5f1bb
	s_mov_b32 s23, 0xbfe348c8
	v_add_f64_e64 v[181:182], v[68:69], -v[92:93]
	v_mul_f64_e32 v[18:19], s[48:49], v[159:160]
	v_add_f64_e32 v[151:152], v[70:71], v[94:95]
	v_add_f64_e64 v[195:196], v[74:75], -v[90:91]
	v_add_f64_e32 v[132:133], v[72:73], v[88:89]
	s_mov_b32 s24, 0x910ea3b9
	s_mov_b32 s25, 0xbfeb34fa
	;; [unrolled: 1-line block ×4, first 2 shown]
	v_add_f64_e64 v[189:190], v[72:73], -v[88:89]
	v_mul_f64_e32 v[22:23], s[44:45], v[159:160]
	v_add_f64_e32 v[147:148], v[74:75], v[90:91]
	v_add_f64_e64 v[215:216], v[82:83], -v[86:87]
	v_mul_f64_e32 v[24:25], s[44:45], v[161:162]
	v_add_f64_e32 v[143:144], v[80:81], v[84:85]
	s_clause 0x1
	scratch_store_b64 off, v[2:3], off offset:20
	scratch_store_b64 off, v[0:1], off offset:140
	s_wait_alu 0xfffe
	v_fma_f64 v[0:1], v[136:137], s[0:1], v[0:1]
	v_fma_f64 v[2:3], v[96:97], s[6:7], v[2:3]
	s_mov_b32 s26, 0x7faef3
	s_mov_b32 s27, 0xbfef7484
	s_clause 0x1
	scratch_store_b64 off, v[4:5], off offset:36
	scratch_store_b64 off, v[20:21], off offset:476
	v_fma_f64 v[4:5], v[100:101], s[6:7], -v[4:5]
	s_mov_b32 s41, 0x3feca52d
	s_mov_b32 s40, s28
	v_add_f64_e64 v[203:204], v[80:81], -v[84:85]
	v_mul_f64_e32 v[26:27], s[40:41], v[159:160]
	v_add_f64_e32 v[155:156], v[82:83], v[86:87]
	v_mul_f64_e32 v[122:123], s[18:19], v[141:142]
	v_mul_f64_e32 v[126:127], s[18:19], v[171:172]
	s_mov_b32 s47, 0x3fd71e95
	s_mov_b32 s46, s14
	v_mul_f64_e32 v[130:131], s[28:29], v[141:142]
	v_mul_f64_e32 v[134:135], s[28:29], v[171:172]
	s_mov_b32 s53, 0x3fc7851a
	s_mov_b32 s52, s42
	;; [unrolled: 1-line block ×4, first 2 shown]
	v_mul_f64_e32 v[217:218], s[14:15], v[181:182]
	v_mul_f64_e32 v[138:139], s[30:31], v[141:142]
	;; [unrolled: 1-line block ×5, first 2 shown]
	s_mov_b32 s55, 0x3fe9895b
	s_mov_b32 s54, s36
	v_mul_f64_e32 v[149:150], s[34:35], v[141:142]
	v_mul_f64_e32 v[153:154], s[34:35], v[171:172]
	v_fma_f64 v[20:21], v[100:101], s[24:25], -v[20:21]
	v_mul_f64_e32 v[213:214], s[28:29], v[175:176]
	v_mul_f64_e32 v[199:200], s[42:43], v[177:178]
	;; [unrolled: 1-line block ×3, first 2 shown]
	s_mov_b32 s57, 0x3fefdd0d
	s_mov_b32 s56, s30
	v_mul_f64_e32 v[219:220], s[14:15], v[189:190]
	v_add_f64_e32 v[0:1], v[28:29], v[0:1]
	v_mul_f64_e32 v[227:228], s[56:57], v[185:186]
	v_mul_f64_e32 v[253:254], s[56:57], v[181:182]
	;; [unrolled: 1-line block ×25, first 2 shown]
	scratch_store_b64 off, v[6:7], off offset:196 ; 8-byte Folded Spill
	v_fma_f64 v[6:7], v[96:97], s[16:17], v[6:7]
	scratch_store_b64 off, v[8:9], off offset:228 ; 8-byte Folded Spill
	v_fma_f64 v[8:9], v[100:101], s[16:17], -v[8:9]
	scratch_store_b64 off, v[10:11], off offset:236 ; 8-byte Folded Spill
	v_fma_f64 v[10:11], v[96:97], s[22:23], v[10:11]
	scratch_store_b64 off, v[12:13], off offset:300 ; 8-byte Folded Spill
	v_fma_f64 v[12:13], v[100:101], s[22:23], -v[12:13]
	scratch_store_b64 off, v[16:17], off offset:380 ; 8-byte Folded Spill
	v_fma_f64 v[16:17], v[100:101], s[26:27], -v[16:17]
	scratch_store_b64 off, v[14:15], off offset:284 ; 8-byte Folded Spill
	v_fma_f64 v[14:15], v[96:97], s[26:27], v[14:15]
	v_add_f64_e32 v[0:1], v[2:3], v[0:1]
	v_mul_f64_e32 v[2:3], s[14:15], v[171:172]
	scratch_store_b64 off, v[18:19], off offset:340 ; 8-byte Folded Spill
	v_fma_f64 v[18:19], v[96:97], s[24:25], v[18:19]
	scratch_store_b64 off, v[22:23], off offset:420 ; 8-byte Folded Spill
	v_fma_f64 v[22:23], v[96:97], s[20:21], v[22:23]
	scratch_store_b64 off, v[24:25], off offset:588 ; 8-byte Folded Spill
	v_fma_f64 v[24:25], v[100:101], s[20:21], -v[24:25]
	scratch_store_b64 off, v[26:27], off offset:516 ; 8-byte Folded Spill
	v_fma_f64 v[26:27], v[96:97], s[10:11], v[26:27]
	v_fma_f64 v[98:99], v[100:101], s[10:11], -v[211:212]
	scratch_store_b64 off, v[2:3], off offset:188 ; 8-byte Folded Spill
	v_fma_f64 v[2:3], v[165:166], s[0:1], -v[2:3]
	s_delay_alu instid0(VALU_DEP_1) | instskip(NEXT) | instid1(VALU_DEP_1)
	v_add_f64_e32 v[2:3], v[30:31], v[2:3]
	v_add_f64_e32 v[2:3], v[4:5], v[2:3]
	v_mul_f64_e32 v[4:5], s[28:29], v[163:164]
	scratch_store_b64 off, v[4:5], off offset:44 ; 8-byte Folded Spill
	v_fma_f64 v[4:5], v[104:105], s[10:11], v[4:5]
	s_delay_alu instid0(VALU_DEP_1) | instskip(SKIP_3) | instid1(VALU_DEP_1)
	v_add_f64_e32 v[0:1], v[4:5], v[0:1]
	v_mul_f64_e32 v[4:5], s[28:29], v[169:170]
	scratch_store_b64 off, v[4:5], off offset:76 ; 8-byte Folded Spill
	v_fma_f64 v[4:5], v[112:113], s[10:11], -v[4:5]
	v_add_f64_e32 v[2:3], v[4:5], v[2:3]
	v_mul_f64_e32 v[4:5], s[30:31], v[173:174]
	scratch_store_b64 off, v[4:5], off offset:60 ; 8-byte Folded Spill
	v_fma_f64 v[4:5], v[108:109], s[16:17], v[4:5]
	s_delay_alu instid0(VALU_DEP_1) | instskip(SKIP_3) | instid1(VALU_DEP_1)
	v_add_f64_e32 v[0:1], v[4:5], v[0:1]
	v_mul_f64_e32 v[4:5], s[30:31], v[175:176]
	scratch_store_b64 off, v[4:5], off offset:100 ; 8-byte Folded Spill
	v_fma_f64 v[4:5], v[120:121], s[16:17], -v[4:5]
	v_add_f64_e32 v[2:3], v[4:5], v[2:3]
	v_mul_f64_e32 v[4:5], s[34:35], v[177:178]
	scratch_store_b64 off, v[4:5], off offset:92 ; 8-byte Folded Spill
	v_fma_f64 v[4:5], v[116:117], s[20:21], v[4:5]
	s_delay_alu instid0(VALU_DEP_1) | instskip(SKIP_3) | instid1(VALU_DEP_1)
	v_add_f64_e32 v[0:1], v[4:5], v[0:1]
	v_mul_f64_e32 v[4:5], s[34:35], v[179:180]
	scratch_store_b64 off, v[4:5], off offset:116 ; 8-byte Folded Spill
	v_fma_f64 v[4:5], v[128:129], s[20:21], -v[4:5]
	v_add_f64_e32 v[2:3], v[4:5], v[2:3]
	v_mul_f64_e32 v[4:5], s[36:37], v[185:186]
	scratch_store_b64 off, v[4:5], off offset:108 ; 8-byte Folded Spill
	v_fma_f64 v[4:5], v[124:125], s[22:23], v[4:5]
	s_delay_alu instid0(VALU_DEP_1) | instskip(SKIP_3) | instid1(VALU_DEP_1)
	v_add_f64_e32 v[0:1], v[4:5], v[0:1]
	v_mul_f64_e32 v[4:5], s[36:37], v[181:182]
	scratch_store_b64 off, v[4:5], off offset:164 ; 8-byte Folded Spill
	v_fma_f64 v[4:5], v[151:152], s[22:23], -v[4:5]
	v_add_f64_e32 v[2:3], v[4:5], v[2:3]
	v_mul_f64_e32 v[4:5], s[38:39], v[195:196]
	scratch_store_b64 off, v[4:5], off offset:124 ; 8-byte Folded Spill
	v_fma_f64 v[4:5], v[132:133], s[24:25], v[4:5]
	s_delay_alu instid0(VALU_DEP_1) | instskip(SKIP_3) | instid1(VALU_DEP_1)
	v_add_f64_e32 v[0:1], v[4:5], v[0:1]
	v_mul_f64_e32 v[4:5], s[38:39], v[189:190]
	scratch_store_b64 off, v[4:5], off offset:156 ; 8-byte Folded Spill
	v_fma_f64 v[4:5], v[147:148], s[24:25], -v[4:5]
	v_add_f64_e32 v[2:3], v[4:5], v[2:3]
	v_mul_f64_e32 v[4:5], s[42:43], v[215:216]
	scratch_store_b64 off, v[4:5], off offset:148 ; 8-byte Folded Spill
	v_fma_f64 v[4:5], v[143:144], s[26:27], v[4:5]
	s_delay_alu instid0(VALU_DEP_1) | instskip(SKIP_3) | instid1(VALU_DEP_1)
	v_add_f64_e32 v[0:1], v[4:5], v[0:1]
	v_mul_f64_e32 v[4:5], s[42:43], v[203:204]
	scratch_store_b64 off, v[4:5], off offset:172 ; 8-byte Folded Spill
	v_fma_f64 v[4:5], v[155:156], s[26:27], -v[4:5]
	v_add_f64_e32 v[2:3], v[4:5], v[2:3]
	v_fma_f64 v[4:5], v[136:137], s[6:7], v[122:123]
	s_delay_alu instid0(VALU_DEP_1) | instskip(NEXT) | instid1(VALU_DEP_1)
	v_add_f64_e32 v[4:5], v[28:29], v[4:5]
	v_add_f64_e32 v[4:5], v[6:7], v[4:5]
	v_fma_f64 v[6:7], v[165:166], s[6:7], -v[126:127]
	s_delay_alu instid0(VALU_DEP_1) | instskip(NEXT) | instid1(VALU_DEP_1)
	v_add_f64_e32 v[6:7], v[30:31], v[6:7]
	v_add_f64_e32 v[6:7], v[8:9], v[6:7]
	v_mul_f64_e32 v[8:9], s[36:37], v[163:164]
	scratch_store_b64 off, v[8:9], off offset:204 ; 8-byte Folded Spill
	v_fma_f64 v[8:9], v[104:105], s[22:23], v[8:9]
	s_delay_alu instid0(VALU_DEP_1) | instskip(SKIP_3) | instid1(VALU_DEP_1)
	v_add_f64_e32 v[4:5], v[8:9], v[4:5]
	v_mul_f64_e32 v[8:9], s[36:37], v[169:170]
	scratch_store_b64 off, v[8:9], off offset:244 ; 8-byte Folded Spill
	v_fma_f64 v[8:9], v[112:113], s[22:23], -v[8:9]
	v_add_f64_e32 v[6:7], v[8:9], v[6:7]
	v_mul_f64_e32 v[8:9], s[42:43], v[173:174]
	scratch_store_b64 off, v[8:9], off offset:220 ; 8-byte Folded Spill
	v_fma_f64 v[8:9], v[108:109], s[26:27], v[8:9]
	s_delay_alu instid0(VALU_DEP_1) | instskip(SKIP_3) | instid1(VALU_DEP_1)
	v_add_f64_e32 v[4:5], v[8:9], v[4:5]
	v_mul_f64_e32 v[8:9], s[42:43], v[175:176]
	scratch_store_b64 off, v[8:9], off offset:308 ; 8-byte Folded Spill
	v_fma_f64 v[8:9], v[120:121], s[26:27], -v[8:9]
	;; [unrolled: 9-line block ×6, first 2 shown]
	v_add_f64_e32 v[6:7], v[8:9], v[6:7]
	v_fma_f64 v[8:9], v[136:137], s[10:11], v[130:131]
	s_delay_alu instid0(VALU_DEP_1) | instskip(NEXT) | instid1(VALU_DEP_1)
	v_add_f64_e32 v[8:9], v[28:29], v[8:9]
	v_add_f64_e32 v[8:9], v[10:11], v[8:9]
	v_fma_f64 v[10:11], v[165:166], s[10:11], -v[134:135]
	s_delay_alu instid0(VALU_DEP_1) | instskip(NEXT) | instid1(VALU_DEP_1)
	v_add_f64_e32 v[10:11], v[30:31], v[10:11]
	v_add_f64_e32 v[10:11], v[12:13], v[10:11]
	v_mul_f64_e32 v[12:13], s[52:53], v[163:164]
	scratch_store_b64 off, v[12:13], off offset:252 ; 8-byte Folded Spill
	v_fma_f64 v[12:13], v[104:105], s[26:27], v[12:13]
	s_delay_alu instid0(VALU_DEP_1) | instskip(SKIP_3) | instid1(VALU_DEP_1)
	v_add_f64_e32 v[8:9], v[12:13], v[8:9]
	v_mul_f64_e32 v[12:13], s[52:53], v[169:170]
	scratch_store_b64 off, v[12:13], off offset:372 ; 8-byte Folded Spill
	v_fma_f64 v[12:13], v[112:113], s[26:27], -v[12:13]
	v_add_f64_e32 v[10:11], v[12:13], v[10:11]
	v_mul_f64_e32 v[12:13], s[44:45], v[173:174]
	scratch_store_b64 off, v[12:13], off offset:292 ; 8-byte Folded Spill
	v_fma_f64 v[12:13], v[108:109], s[20:21], v[12:13]
	s_delay_alu instid0(VALU_DEP_1) | instskip(SKIP_3) | instid1(VALU_DEP_1)
	v_add_f64_e32 v[8:9], v[12:13], v[8:9]
	v_mul_f64_e32 v[12:13], s[44:45], v[175:176]
	scratch_store_b64 off, v[12:13], off offset:444 ; 8-byte Folded Spill
	v_fma_f64 v[12:13], v[120:121], s[20:21], -v[12:13]
	;; [unrolled: 9-line block ×3, first 2 shown]
	v_add_f64_e32 v[10:11], v[12:13], v[10:11]
	v_mul_f64_e32 v[12:13], s[14:15], v[185:186]
	scratch_store_b64 off, v[12:13], off offset:508 ; 8-byte Folded Spill
	v_fma_f64 v[12:13], v[124:125], s[0:1], v[12:13]
	s_delay_alu instid0(VALU_DEP_1) | instskip(SKIP_1) | instid1(VALU_DEP_1)
	v_add_f64_e32 v[8:9], v[12:13], v[8:9]
	v_fma_f64 v[12:13], v[151:152], s[0:1], -v[217:218]
	v_add_f64_e32 v[10:11], v[12:13], v[10:11]
	v_mul_f64_e32 v[12:13], s[30:31], v[195:196]
	scratch_store_b64 off, v[12:13], off offset:396 ; 8-byte Folded Spill
	v_fma_f64 v[12:13], v[132:133], s[16:17], v[12:13]
	s_delay_alu instid0(VALU_DEP_1) | instskip(SKIP_3) | instid1(VALU_DEP_1)
	v_add_f64_e32 v[8:9], v[12:13], v[8:9]
	v_mul_f64_e32 v[12:13], s[30:31], v[189:190]
	scratch_store_b64 off, v[12:13], off offset:452 ; 8-byte Folded Spill
	v_fma_f64 v[12:13], v[147:148], s[16:17], -v[12:13]
	v_add_f64_e32 v[10:11], v[12:13], v[10:11]
	v_mul_f64_e32 v[12:13], s[38:39], v[215:216]
	scratch_store_b64 off, v[12:13], off offset:364 ; 8-byte Folded Spill
	v_fma_f64 v[12:13], v[143:144], s[24:25], v[12:13]
	s_delay_alu instid0(VALU_DEP_1) | instskip(SKIP_3) | instid1(VALU_DEP_1)
	v_add_f64_e32 v[8:9], v[12:13], v[8:9]
	v_mul_f64_e32 v[12:13], s[38:39], v[203:204]
	scratch_store_b64 off, v[12:13], off offset:436 ; 8-byte Folded Spill
	v_fma_f64 v[12:13], v[155:156], s[24:25], -v[12:13]
	v_add_f64_e32 v[10:11], v[12:13], v[10:11]
	v_fma_f64 v[12:13], v[136:137], s[16:17], v[138:139]
	s_delay_alu instid0(VALU_DEP_1) | instskip(NEXT) | instid1(VALU_DEP_1)
	v_add_f64_e32 v[12:13], v[28:29], v[12:13]
	v_add_f64_e32 v[12:13], v[14:15], v[12:13]
	v_fma_f64 v[14:15], v[165:166], s[16:17], -v[145:146]
	s_delay_alu instid0(VALU_DEP_1) | instskip(NEXT) | instid1(VALU_DEP_1)
	v_add_f64_e32 v[14:15], v[30:31], v[14:15]
	v_add_f64_e32 v[14:15], v[16:17], v[14:15]
	v_mul_f64_e32 v[16:17], s[44:45], v[163:164]
	scratch_store_b64 off, v[16:17], off offset:324 ; 8-byte Folded Spill
	v_fma_f64 v[16:17], v[104:105], s[20:21], v[16:17]
	s_delay_alu instid0(VALU_DEP_1) | instskip(SKIP_3) | instid1(VALU_DEP_1)
	v_add_f64_e32 v[12:13], v[16:17], v[12:13]
	v_mul_f64_e32 v[16:17], s[44:45], v[169:170]
	scratch_store_b64 off, v[16:17], off offset:468 ; 8-byte Folded Spill
	v_fma_f64 v[16:17], v[112:113], s[20:21], -v[16:17]
	v_add_f64_e32 v[14:15], v[16:17], v[14:15]
	v_mul_f64_e32 v[16:17], s[46:47], v[173:174]
	scratch_store_b64 off, v[16:17], off offset:348 ; 8-byte Folded Spill
	v_fma_f64 v[16:17], v[108:109], s[0:1], v[16:17]
	s_delay_alu instid0(VALU_DEP_1) | instskip(SKIP_3) | instid1(VALU_DEP_1)
	v_add_f64_e32 v[12:13], v[16:17], v[12:13]
	v_mul_f64_e32 v[16:17], s[46:47], v[175:176]
	scratch_store_b64 off, v[16:17], off offset:548 ; 8-byte Folded Spill
	v_fma_f64 v[16:17], v[120:121], s[0:1], -v[16:17]
	v_add_f64_e32 v[14:15], v[16:17], v[14:15]
	v_mul_f64_e32 v[16:17], s[28:29], v[177:178]
	scratch_store_b64 off, v[16:17], off offset:500 ; 8-byte Folded Spill
	v_fma_f64 v[16:17], v[116:117], s[10:11], v[16:17]
	s_delay_alu instid0(VALU_DEP_1) | instskip(SKIP_1) | instid1(VALU_DEP_1)
	v_add_f64_e32 v[12:13], v[16:17], v[12:13]
	v_fma_f64 v[16:17], v[128:129], s[10:11], -v[207:208]
	v_add_f64_e32 v[14:15], v[16:17], v[14:15]
	v_mul_f64_e32 v[16:17], s[38:39], v[185:186]
	scratch_store_b64 off, v[16:17], off offset:604 ; 8-byte Folded Spill
	v_fma_f64 v[16:17], v[124:125], s[24:25], v[16:17]
	s_delay_alu instid0(VALU_DEP_1) | instskip(SKIP_1) | instid1(VALU_DEP_1)
	v_add_f64_e32 v[12:13], v[16:17], v[12:13]
	v_fma_f64 v[16:17], v[151:152], s[24:25], -v[233:234]
	v_add_f64_e32 v[14:15], v[16:17], v[14:15]
	v_mul_f64_e32 v[16:17], s[54:55], v[195:196]
	scratch_store_b64 off, v[16:17], off offset:484 ; 8-byte Folded Spill
	v_fma_f64 v[16:17], v[132:133], s[22:23], v[16:17]
	s_delay_alu instid0(VALU_DEP_1) | instskip(SKIP_3) | instid1(VALU_DEP_1)
	v_add_f64_e32 v[12:13], v[16:17], v[12:13]
	v_mul_f64_e32 v[16:17], s[54:55], v[189:190]
	scratch_store_b64 off, v[16:17], off offset:556 ; 8-byte Folded Spill
	v_fma_f64 v[16:17], v[147:148], s[22:23], -v[16:17]
	v_add_f64_e32 v[14:15], v[16:17], v[14:15]
	v_mul_f64_e32 v[16:17], s[50:51], v[215:216]
	scratch_store_b64 off, v[16:17], off offset:460 ; 8-byte Folded Spill
	v_fma_f64 v[16:17], v[143:144], s[6:7], v[16:17]
	s_delay_alu instid0(VALU_DEP_1) | instskip(SKIP_3) | instid1(VALU_DEP_1)
	v_add_f64_e32 v[12:13], v[16:17], v[12:13]
	v_mul_f64_e32 v[16:17], s[50:51], v[203:204]
	scratch_store_b64 off, v[16:17], off offset:540 ; 8-byte Folded Spill
	v_fma_f64 v[16:17], v[155:156], s[6:7], -v[16:17]
	v_add_f64_e32 v[14:15], v[16:17], v[14:15]
	v_fma_f64 v[16:17], v[136:137], s[20:21], v[149:150]
	s_delay_alu instid0(VALU_DEP_1) | instskip(NEXT) | instid1(VALU_DEP_1)
	v_add_f64_e32 v[16:17], v[28:29], v[16:17]
	v_add_f64_e32 v[16:17], v[18:19], v[16:17]
	v_fma_f64 v[18:19], v[165:166], s[20:21], -v[153:154]
	s_delay_alu instid0(VALU_DEP_1) | instskip(NEXT) | instid1(VALU_DEP_1)
	v_add_f64_e32 v[18:19], v[30:31], v[18:19]
	v_add_f64_e32 v[18:19], v[20:21], v[18:19]
	v_mul_f64_e32 v[20:21], s[50:51], v[163:164]
	scratch_store_b64 off, v[20:21], off offset:404 ; 8-byte Folded Spill
	v_fma_f64 v[20:21], v[104:105], s[6:7], v[20:21]
	s_delay_alu instid0(VALU_DEP_1) | instskip(SKIP_3) | instid1(VALU_DEP_1)
	v_add_f64_e32 v[16:17], v[20:21], v[16:17]
	v_mul_f64_e32 v[20:21], s[50:51], v[169:170]
	scratch_store_b64 off, v[20:21], off offset:572 ; 8-byte Folded Spill
	v_fma_f64 v[20:21], v[112:113], s[6:7], -v[20:21]
	v_add_f64_e32 v[18:19], v[20:21], v[18:19]
	v_mul_f64_e32 v[20:21], s[28:29], v[173:174]
	scratch_store_b64 off, v[20:21], off offset:428 ; 8-byte Folded Spill
	v_fma_f64 v[20:21], v[108:109], s[10:11], v[20:21]
	s_delay_alu instid0(VALU_DEP_1) | instskip(SKIP_1) | instid1(VALU_DEP_1)
	v_add_f64_e32 v[16:17], v[20:21], v[16:17]
	v_fma_f64 v[20:21], v[120:121], s[10:11], -v[213:214]
	v_add_f64_e32 v[18:19], v[20:21], v[18:19]
	v_fma_f64 v[20:21], v[116:117], s[26:27], v[199:200]
	s_delay_alu instid0(VALU_DEP_1) | instskip(SKIP_1) | instid1(VALU_DEP_1)
	v_add_f64_e32 v[16:17], v[20:21], v[16:17]
	v_fma_f64 v[20:21], v[128:129], s[26:27], -v[241:242]
	v_add_f64_e32 v[18:19], v[20:21], v[18:19]
	;; [unrolled: 5-line block ×3, first 2 shown]
	v_mul_f64_e32 v[20:21], s[14:15], v[195:196]
	scratch_store_b64 off, v[20:21], off offset:596 ; 8-byte Folded Spill
	v_fma_f64 v[20:21], v[132:133], s[0:1], v[20:21]
	s_delay_alu instid0(VALU_DEP_1) | instskip(SKIP_1) | instid1(VALU_DEP_1)
	v_add_f64_e32 v[16:17], v[20:21], v[16:17]
	v_fma_f64 v[20:21], v[147:148], s[0:1], -v[219:220]
	v_add_f64_e32 v[18:19], v[20:21], v[18:19]
	v_mul_f64_e32 v[20:21], s[36:37], v[215:216]
	scratch_store_b64 off, v[20:21], off offset:564 ; 8-byte Folded Spill
	v_fma_f64 v[20:21], v[143:144], s[22:23], v[20:21]
	s_delay_alu instid0(VALU_DEP_1) | instskip(SKIP_1) | instid1(VALU_DEP_1)
	v_add_f64_e32 v[16:17], v[20:21], v[16:17]
	v_fma_f64 v[20:21], v[155:156], s[22:23], -v[209:210]
	v_add_f64_e32 v[18:19], v[20:21], v[18:19]
	v_fma_f64 v[20:21], v[136:137], s[22:23], v[157:158]
	s_delay_alu instid0(VALU_DEP_1) | instskip(NEXT) | instid1(VALU_DEP_1)
	v_add_f64_e32 v[20:21], v[28:29], v[20:21]
	v_add_f64_e32 v[20:21], v[22:23], v[20:21]
	v_fma_f64 v[22:23], v[165:166], s[22:23], -v[167:168]
	s_delay_alu instid0(VALU_DEP_1) | instskip(NEXT) | instid1(VALU_DEP_1)
	v_add_f64_e32 v[22:23], v[30:31], v[22:23]
	v_add_f64_e32 v[22:23], v[24:25], v[22:23]
	v_mul_f64_e32 v[24:25], s[14:15], v[163:164]
	scratch_store_b64 off, v[24:25], off offset:524 ; 8-byte Folded Spill
	v_fma_f64 v[24:25], v[104:105], s[0:1], v[24:25]
	s_delay_alu instid0(VALU_DEP_1) | instskip(SKIP_1) | instid1(VALU_DEP_1)
	v_add_f64_e32 v[20:21], v[24:25], v[20:21]
	v_fma_f64 v[24:25], v[112:113], s[0:1], -v[223:224]
	v_add_f64_e32 v[22:23], v[24:25], v[22:23]
	v_mul_f64_e32 v[24:25], s[38:39], v[173:174]
	scratch_store_b64 off, v[24:25], off offset:532 ; 8-byte Folded Spill
	v_fma_f64 v[24:25], v[108:109], s[24:25], v[24:25]
	global_wb scope:SCOPE_SE
	s_wait_storecnt 0x0
	s_barrier_signal -1
	s_barrier_wait -1
	global_inv scope:SCOPE_SE
	v_add_f64_e32 v[20:21], v[24:25], v[20:21]
	v_fma_f64 v[24:25], v[120:121], s[24:25], -v[243:244]
	s_delay_alu instid0(VALU_DEP_1) | instskip(SKIP_1) | instid1(VALU_DEP_1)
	v_add_f64_e32 v[22:23], v[24:25], v[22:23]
	v_fma_f64 v[24:25], v[116:117], s[16:17], v[225:226]
	v_add_f64_e32 v[20:21], v[24:25], v[20:21]
	v_fma_f64 v[24:25], v[128:129], s[16:17], -v[102:103]
	s_delay_alu instid0(VALU_DEP_1) | instskip(SKIP_1) | instid1(VALU_DEP_1)
	v_add_f64_e32 v[22:23], v[24:25], v[22:23]
	v_fma_f64 v[24:25], v[124:125], s[6:7], v[247:248]
	;; [unrolled: 5-line block ×5, first 2 shown]
	v_add_f64_e32 v[24:25], v[28:29], v[24:25]
	s_delay_alu instid0(VALU_DEP_1) | instskip(SKIP_1) | instid1(VALU_DEP_1)
	v_add_f64_e32 v[24:25], v[26:27], v[24:25]
	v_fma_f64 v[26:27], v[165:166], s[24:25], -v[187:188]
	v_add_f64_e32 v[26:27], v[30:31], v[26:27]
	s_delay_alu instid0(VALU_DEP_1) | instskip(SKIP_1) | instid1(VALU_DEP_1)
	v_add_f64_e32 v[26:27], v[98:99], v[26:27]
	v_fma_f64 v[98:99], v[104:105], s[16:17], v[197:198]
	v_add_f64_e32 v[24:25], v[98:99], v[24:25]
	v_fma_f64 v[98:99], v[112:113], s[16:17], -v[239:240]
	s_delay_alu instid0(VALU_DEP_1) | instskip(SKIP_1) | instid1(VALU_DEP_1)
	v_add_f64_e32 v[26:27], v[98:99], v[26:27]
	v_fma_f64 v[98:99], v[108:109], s[22:23], v[201:202]
	v_add_f64_e32 v[24:25], v[98:99], v[24:25]
	v_mul_f64_e32 v[98:99], s[54:55], v[175:176]
	s_delay_alu instid0(VALU_DEP_1) | instskip(NEXT) | instid1(VALU_DEP_1)
	v_fma_f64 v[106:107], v[120:121], s[22:23], -v[98:99]
	v_add_f64_e32 v[26:27], v[106:107], v[26:27]
	v_fma_f64 v[106:107], v[116:117], s[0:1], v[245:246]
	s_delay_alu instid0(VALU_DEP_1) | instskip(SKIP_1) | instid1(VALU_DEP_1)
	v_add_f64_e32 v[24:25], v[106:107], v[24:25]
	v_fma_f64 v[106:107], v[128:129], s[0:1], -v[110:111]
	v_add_f64_e32 v[26:27], v[106:107], v[26:27]
	v_mul_f64_e32 v[106:107], s[42:43], v[185:186]
	s_delay_alu instid0(VALU_DEP_1) | instskip(NEXT) | instid1(VALU_DEP_1)
	v_fma_f64 v[118:119], v[124:125], s[26:27], v[106:107]
	v_add_f64_e32 v[24:25], v[118:119], v[24:25]
	v_mul_f64_e32 v[118:119], s[42:43], v[181:182]
	s_delay_alu instid0(VALU_DEP_1) | instskip(NEXT) | instid1(VALU_DEP_1)
	v_fma_f64 v[229:230], v[151:152], s[26:27], -v[118:119]
	v_add_f64_e32 v[26:27], v[229:230], v[26:27]
	v_fma_f64 v[229:230], v[132:133], s[6:7], v[237:238]
	s_delay_alu instid0(VALU_DEP_1) | instskip(SKIP_1) | instid1(VALU_DEP_1)
	v_add_f64_e32 v[24:25], v[229:230], v[24:25]
	v_fma_f64 v[229:230], v[147:148], s[6:7], -v[251:252]
	v_add_f64_e32 v[26:27], v[229:230], v[26:27]
	v_mul_f64_e32 v[229:230], s[34:35], v[215:216]
	s_delay_alu instid0(VALU_DEP_1) | instskip(NEXT) | instid1(VALU_DEP_1)
	v_fma_f64 v[249:250], v[143:144], s[20:21], v[229:230]
	v_add_f64_e32 v[24:25], v[249:250], v[24:25]
	v_mul_f64_e32 v[249:250], s[34:35], v[203:204]
	s_delay_alu instid0(VALU_DEP_1) | instskip(NEXT) | instid1(VALU_DEP_1)
	v_fma_f64 v[193:194], v[155:156], s[20:21], -v[249:250]
	v_add_f64_e32 v[26:27], v[193:194], v[26:27]
	scratch_load_b32 v193, off, off         ; 4-byte Folded Reload
	s_wait_loadcnt 0x0
	v_mul_lo_u16 v193, v193, 17
	scratch_store_b32 off, v193, off offset:16 ; 4-byte Folded Spill
	s_and_saveexec_b32 s33, vcc_lo
	s_cbranch_execz .LBB0_7
; %bb.6:
	v_add_f64_e32 v[48:49], v[28:29], v[48:49]
	v_add_f64_e32 v[50:51], v[30:31], v[50:51]
	s_delay_alu instid0(VALU_DEP_2) | instskip(NEXT) | instid1(VALU_DEP_2)
	v_add_f64_e32 v[48:49], v[48:49], v[52:53]
	v_add_f64_e32 v[50:51], v[50:51], v[54:55]
	v_mul_f64_e32 v[52:53], s[16:17], v[165:166]
	v_mul_f64_e32 v[54:55], s[16:17], v[136:137]
	s_delay_alu instid0(VALU_DEP_4) | instskip(NEXT) | instid1(VALU_DEP_4)
	v_add_f64_e32 v[48:49], v[48:49], v[56:57]
	v_add_f64_e32 v[50:51], v[50:51], v[58:59]
	s_delay_alu instid0(VALU_DEP_4)
	v_add_f64_e32 v[52:53], v[145:146], v[52:53]
	v_mul_f64_e32 v[58:59], s[10:11], v[136:137]
	v_add_f64_e64 v[54:55], v[54:55], -v[138:139]
	v_mul_f64_e32 v[56:57], s[10:11], v[165:166]
	v_add_f64_e32 v[48:49], v[48:49], v[60:61]
	v_add_f64_e32 v[50:51], v[50:51], v[62:63]
	v_mul_f64_e32 v[62:63], s[6:7], v[136:137]
	v_add_f64_e64 v[58:59], v[58:59], -v[130:131]
	v_mul_f64_e32 v[60:61], s[6:7], v[165:166]
	v_add_f64_e32 v[56:57], v[134:135], v[56:57]
	v_add_f64_e32 v[48:49], v[48:49], v[64:65]
	;; [unrolled: 1-line block ×3, first 2 shown]
	scratch_load_b64 v[66:67], off, off offset:188 th:TH_LOAD_LU ; 8-byte Folded Reload
	v_mul_f64_e32 v[64:65], s[0:1], v[165:166]
	v_add_f64_e64 v[62:63], v[62:63], -v[122:123]
	v_add_f64_e32 v[60:61], v[126:127], v[60:61]
	v_mul_f64_e32 v[122:123], s[16:17], v[155:156]
	v_add_f64_e32 v[48:49], v[48:49], v[68:69]
	v_add_f64_e32 v[50:51], v[50:51], v[70:71]
	v_mul_f64_e32 v[70:71], s[0:1], v[136:137]
	s_delay_alu instid0(VALU_DEP_3) | instskip(SKIP_3) | instid1(VALU_DEP_2)
	v_add_f64_e32 v[48:49], v[48:49], v[72:73]
	scratch_load_b64 v[72:73], off, off offset:140 th:TH_LOAD_LU ; 8-byte Folded Reload
	v_add_f64_e32 v[50:51], v[50:51], v[74:75]
	v_add_f64_e32 v[48:49], v[48:49], v[80:81]
	;; [unrolled: 1-line block ×3, first 2 shown]
	s_delay_alu instid0(VALU_DEP_2) | instskip(NEXT) | instid1(VALU_DEP_2)
	v_add_f64_e32 v[48:49], v[48:49], v[84:85]
	v_add_f64_e32 v[50:51], v[50:51], v[86:87]
	s_delay_alu instid0(VALU_DEP_2) | instskip(NEXT) | instid1(VALU_DEP_2)
	v_add_f64_e32 v[48:49], v[48:49], v[88:89]
	v_add_f64_e32 v[50:51], v[50:51], v[90:91]
	;; [unrolled: 3-line block ×3, first 2 shown]
	v_mul_f64_e32 v[94:95], s[56:57], v[215:216]
	s_delay_alu instid0(VALU_DEP_3) | instskip(NEXT) | instid1(VALU_DEP_3)
	v_add_f64_e32 v[48:49], v[48:49], v[76:77]
	v_add_f64_e32 v[50:51], v[50:51], v[78:79]
	s_delay_alu instid0(VALU_DEP_2) | instskip(SKIP_1) | instid1(VALU_DEP_3)
	v_add_f64_e32 v[44:45], v[48:49], v[44:45]
	v_mul_f64_e32 v[48:49], s[20:21], v[165:166]
	v_add_f64_e32 v[46:47], v[50:51], v[46:47]
	v_mul_f64_e32 v[50:51], s[20:21], v[136:137]
	s_wait_loadcnt 0x1
	v_add_f64_e32 v[64:65], v[66:67], v[64:65]
	v_mul_f64_e32 v[66:67], s[42:43], v[141:142]
	v_add_f64_e32 v[40:41], v[44:45], v[40:41]
	v_add_f64_e32 v[48:49], v[153:154], v[48:49]
	;; [unrolled: 1-line block ×3, first 2 shown]
	v_mul_f64_e32 v[46:47], s[22:23], v[136:137]
	v_mul_f64_e32 v[44:45], s[22:23], v[165:166]
	v_add_f64_e64 v[50:51], v[50:51], -v[149:150]
	v_add_f64_e32 v[64:65], v[30:31], v[64:65]
	v_fma_f64 v[68:69], v[136:137], s[26:27], v[66:67]
	v_fma_f64 v[66:67], v[136:137], s[26:27], -v[66:67]
	v_add_f64_e32 v[36:37], v[40:41], v[36:37]
	v_add_f64_e32 v[80:81], v[30:31], v[48:49]
	;; [unrolled: 1-line block ×3, first 2 shown]
	v_mul_f64_e32 v[42:43], s[24:25], v[136:137]
	v_add_f64_e64 v[46:47], v[46:47], -v[157:158]
	v_add_f64_e32 v[48:49], v[30:31], v[52:53]
	v_mul_f64_e32 v[52:53], s[0:1], v[100:101]
	v_mul_f64_e32 v[40:41], s[24:25], v[165:166]
	v_add_f64_e32 v[44:45], v[167:168], v[44:45]
	v_add_f64_e32 v[82:83], v[28:29], v[50:51]
	;; [unrolled: 1-line block ×3, first 2 shown]
	v_mul_f64_e32 v[54:55], s[24:25], v[112:113]
	s_wait_loadcnt 0x0
	v_add_f64_e64 v[70:71], v[70:71], -v[72:73]
	v_add_f64_e32 v[68:69], v[28:29], v[68:69]
	v_add_f64_e32 v[66:67], v[28:29], v[66:67]
	v_add_f64_e32 v[32:33], v[36:37], v[32:33]
	v_mul_f64_e32 v[36:37], s[26:27], v[165:166]
	v_add_f64_e32 v[34:35], v[38:39], v[34:35]
	v_add_f64_e64 v[42:43], v[42:43], -v[183:184]
	v_add_f64_e32 v[78:79], v[28:29], v[46:47]
	v_add_f64_e32 v[46:47], v[28:29], v[58:59]
	;; [unrolled: 1-line block ×5, first 2 shown]
	v_fma_f64 v[56:57], v[169:170], s[48:49], v[54:55]
	v_fma_f64 v[54:55], v[169:170], s[38:39], v[54:55]
	v_add_f64_e32 v[70:71], v[28:29], v[70:71]
	v_fma_f64 v[38:39], v[171:172], s[52:53], v[36:37]
	v_fma_f64 v[36:37], v[171:172], s[42:43], v[36:37]
	v_add_f64_e32 v[74:75], v[28:29], v[42:43]
	v_add_f64_e32 v[42:43], v[28:29], v[62:63]
	v_fma_f64 v[28:29], v[161:162], s[14:15], v[52:53]
	v_fma_f64 v[52:53], v[161:162], s[46:47], v[52:53]
	v_add_f64_e32 v[72:73], v[30:31], v[40:41]
	v_add_f64_e32 v[40:41], v[30:31], v[60:61]
	;; [unrolled: 1-line block ×4, first 2 shown]
	s_delay_alu instid0(VALU_DEP_2) | instskip(SKIP_1) | instid1(VALU_DEP_3)
	v_add_f64_e32 v[28:29], v[28:29], v[38:39]
	v_mul_f64_e32 v[38:39], s[46:47], v[159:160]
	v_add_f64_e32 v[36:37], v[52:53], v[36:37]
	s_delay_alu instid0(VALU_DEP_3) | instskip(NEXT) | instid1(VALU_DEP_3)
	v_add_f64_e32 v[28:29], v[56:57], v[28:29]
	v_fma_f64 v[30:31], v[96:97], s[0:1], v[38:39]
	v_mul_f64_e32 v[56:57], s[38:39], v[163:164]
	v_fma_f64 v[38:39], v[96:97], s[0:1], -v[38:39]
	v_add_f64_e32 v[36:37], v[54:55], v[36:37]
	v_fma_f64 v[54:55], v[143:144], s[16:17], -v[94:95]
	v_add_f64_e32 v[30:31], v[30:31], v[68:69]
	v_fma_f64 v[58:59], v[104:105], s[24:25], v[56:57]
	v_add_f64_e32 v[38:39], v[38:39], v[66:67]
	v_fma_f64 v[52:53], v[104:105], s[24:25], -v[56:57]
	s_clause 0x1
	scratch_load_b64 v[56:57], off, off offset:388 th:TH_LOAD_LU
	scratch_load_b64 v[66:67], off, off offset:356 th:TH_LOAD_LU
	v_add_f64_e32 v[30:31], v[58:59], v[30:31]
	v_mul_f64_e32 v[58:59], s[6:7], v[120:121]
	v_add_f64_e32 v[38:39], v[52:53], v[38:39]
	s_delay_alu instid0(VALU_DEP_2) | instskip(SKIP_1) | instid1(VALU_DEP_2)
	v_fma_f64 v[60:61], v[175:176], s[18:19], v[58:59]
	v_fma_f64 v[58:59], v[175:176], s[50:51], v[58:59]
	v_add_f64_e32 v[28:29], v[60:61], v[28:29]
	v_mul_f64_e32 v[60:61], s[50:51], v[173:174]
	s_delay_alu instid0(VALU_DEP_3)
	v_add_f64_e32 v[36:37], v[58:59], v[36:37]
	scratch_load_b64 v[58:59], off, off offset:308 th:TH_LOAD_LU ; 8-byte Folded Reload
	v_fma_f64 v[62:63], v[108:109], s[6:7], v[60:61]
	v_fma_f64 v[52:53], v[108:109], s[6:7], -v[60:61]
	scratch_load_b64 v[60:61], off, off offset:244 th:TH_LOAD_LU ; 8-byte Folded Reload
	v_add_f64_e32 v[30:31], v[62:63], v[30:31]
	v_mul_f64_e32 v[62:63], s[22:23], v[128:129]
	v_add_f64_e32 v[38:39], v[52:53], v[38:39]
	s_delay_alu instid0(VALU_DEP_2) | instskip(SKIP_1) | instid1(VALU_DEP_2)
	v_fma_f64 v[68:69], v[179:180], s[54:55], v[62:63]
	v_fma_f64 v[62:63], v[179:180], s[36:37], v[62:63]
	v_add_f64_e32 v[28:29], v[68:69], v[28:29]
	v_mul_f64_e32 v[68:69], s[36:37], v[177:178]
	s_delay_alu instid0(VALU_DEP_3)
	v_add_f64_e32 v[36:37], v[62:63], v[36:37]
	scratch_load_b64 v[62:63], off, off offset:228 th:TH_LOAD_LU ; 8-byte Folded Reload
	v_fma_f64 v[84:85], v[116:117], s[22:23], v[68:69]
	v_fma_f64 v[52:53], v[116:117], s[22:23], -v[68:69]
	scratch_load_b64 v[68:69], off, off offset:260 th:TH_LOAD_LU ; 8-byte Folded Reload
	;; [unrolled: 14-line block ×3, first 2 shown]
	v_add_f64_e32 v[30:31], v[88:89], v[30:31]
	v_mul_f64_e32 v[88:89], s[20:21], v[147:148]
	v_add_f64_e32 v[38:39], v[52:53], v[38:39]
	s_delay_alu instid0(VALU_DEP_2) | instskip(SKIP_1) | instid1(VALU_DEP_2)
	v_fma_f64 v[90:91], v[189:190], s[44:45], v[88:89]
	v_fma_f64 v[88:89], v[189:190], s[34:35], v[88:89]
	v_add_f64_e32 v[28:29], v[90:91], v[28:29]
	v_mul_f64_e32 v[90:91], s[34:35], v[195:196]
	s_delay_alu instid0(VALU_DEP_3) | instskip(NEXT) | instid1(VALU_DEP_2)
	v_add_f64_e32 v[36:37], v[88:89], v[36:37]
	v_fma_f64 v[92:93], v[132:133], s[20:21], v[90:91]
	v_fma_f64 v[52:53], v[132:133], s[20:21], -v[90:91]
	s_delay_alu instid0(VALU_DEP_2) | instskip(SKIP_1) | instid1(VALU_DEP_3)
	v_add_f64_e32 v[92:93], v[92:93], v[30:31]
	v_fma_f64 v[30:31], v[203:204], s[30:31], v[122:123]
	v_add_f64_e32 v[52:53], v[52:53], v[38:39]
	s_delay_alu instid0(VALU_DEP_2) | instskip(SKIP_1) | instid1(VALU_DEP_1)
	v_add_f64_e32 v[30:31], v[30:31], v[28:29]
	v_fma_f64 v[28:29], v[143:144], s[16:17], v[94:95]
	v_add_f64_e32 v[28:29], v[28:29], v[92:93]
	v_fma_f64 v[92:93], v[203:204], s[56:57], v[122:123]
	s_delay_alu instid0(VALU_DEP_1) | instskip(SKIP_4) | instid1(VALU_DEP_1)
	v_add_f64_e32 v[38:39], v[92:93], v[36:37]
	v_add_f64_e32 v[36:37], v[54:55], v[52:53]
	scratch_load_b64 v[54:55], off, off offset:492 th:TH_LOAD_LU ; 8-byte Folded Reload
	v_mul_f64_e32 v[52:53], s[20:21], v[151:152]
	s_wait_loadcnt 0x0
	v_add_f64_e32 v[52:53], v[54:55], v[52:53]
	v_mul_f64_e32 v[54:55], s[24:25], v[128:129]
	s_delay_alu instid0(VALU_DEP_1) | instskip(SKIP_1) | instid1(VALU_DEP_1)
	v_add_f64_e32 v[54:55], v[56:57], v[54:55]
	v_mul_f64_e32 v[56:57], s[26:27], v[120:121]
	v_add_f64_e32 v[56:57], v[58:59], v[56:57]
	v_mul_f64_e32 v[58:59], s[22:23], v[112:113]
	s_delay_alu instid0(VALU_DEP_1) | instskip(SKIP_1) | instid1(VALU_DEP_1)
	v_add_f64_e32 v[58:59], v[60:61], v[58:59]
	v_mul_f64_e32 v[60:61], s[16:17], v[100:101]
	v_add_f64_e32 v[60:61], v[62:63], v[60:61]
	v_mul_f64_e32 v[62:63], s[20:21], v[124:125]
	s_delay_alu instid0(VALU_DEP_2) | instskip(NEXT) | instid1(VALU_DEP_2)
	v_add_f64_e32 v[40:41], v[60:61], v[40:41]
	v_add_f64_e64 v[62:63], v[62:63], -v[66:67]
	v_mul_f64_e32 v[66:67], s[24:25], v[116:117]
	v_mul_f64_e32 v[60:61], s[26:27], v[108:109]
	s_delay_alu instid0(VALU_DEP_4) | instskip(SKIP_1) | instid1(VALU_DEP_4)
	v_add_f64_e32 v[40:41], v[58:59], v[40:41]
	v_mul_f64_e32 v[58:59], s[10:11], v[147:148]
	v_add_f64_e64 v[66:67], v[66:67], -v[68:69]
	v_mul_f64_e32 v[68:69], s[16:17], v[96:97]
	s_delay_alu instid0(VALU_DEP_4) | instskip(SKIP_1) | instid1(VALU_DEP_3)
	v_add_f64_e32 v[40:41], v[56:57], v[40:41]
	v_mul_f64_e32 v[56:57], s[10:11], v[132:133]
	v_add_f64_e64 v[68:69], v[68:69], -v[84:85]
	v_mul_f64_e32 v[84:85], s[22:23], v[104:105]
	s_delay_alu instid0(VALU_DEP_4) | instskip(SKIP_1) | instid1(VALU_DEP_4)
	v_add_f64_e32 v[40:41], v[54:55], v[40:41]
	v_mul_f64_e32 v[54:55], s[0:1], v[155:156]
	v_add_f64_e32 v[42:43], v[68:69], v[42:43]
	scratch_load_b64 v[68:69], off, off offset:220 th:TH_LOAD_LU ; 8-byte Folded Reload
	v_add_f64_e64 v[84:85], v[84:85], -v[86:87]
	scratch_load_b64 v[86:87], off, off offset:252 th:TH_LOAD_LU ; 8-byte Folded Reload
	v_add_f64_e32 v[40:41], v[52:53], v[40:41]
	v_mul_f64_e32 v[52:53], s[0:1], v[143:144]
	v_add_f64_e32 v[42:43], v[84:85], v[42:43]
	scratch_load_b64 v[84:85], off, off offset:236 th:TH_LOAD_LU ; 8-byte Folded Reload
	s_wait_loadcnt 0x2
	v_add_f64_e64 v[60:61], v[60:61], -v[68:69]
	scratch_load_b64 v[68:69], off, off offset:316 th:TH_LOAD_LU ; 8-byte Folded Reload
	v_add_f64_e32 v[42:43], v[60:61], v[42:43]
	scratch_load_b64 v[60:61], off, off offset:268 th:TH_LOAD_LU ; 8-byte Folded Reload
	v_add_f64_e32 v[42:43], v[66:67], v[42:43]
	;; [unrolled: 2-line block ×3, first 2 shown]
	scratch_load_b64 v[62:63], off, off offset:300 th:TH_LOAD_LU ; 8-byte Folded Reload
	s_wait_loadcnt 0x2
	v_add_f64_e64 v[56:57], v[56:57], -v[60:61]
	scratch_load_b64 v[60:61], off, off offset:332 th:TH_LOAD_LU ; 8-byte Folded Reload
	v_add_f64_e32 v[56:57], v[56:57], v[42:43]
	s_wait_loadcnt 0x0
	v_add_f64_e32 v[54:55], v[60:61], v[54:55]
	scratch_load_b64 v[60:61], off, off offset:276 th:TH_LOAD_LU ; 8-byte Folded Reload
	v_add_f64_e32 v[58:59], v[68:69], v[58:59]
	scratch_load_b64 v[68:69], off, off offset:412 th:TH_LOAD_LU ; 8-byte Folded Reload
	;; [unrolled: 2-line block ×3, first 2 shown]
	v_add_f64_e32 v[42:43], v[54:55], v[40:41]
	v_mul_f64_e32 v[54:55], s[6:7], v[128:129]
	s_wait_loadcnt 0x2
	v_add_f64_e64 v[52:53], v[52:53], -v[60:61]
	scratch_load_b64 v[60:61], off, off offset:372 th:TH_LOAD_LU ; 8-byte Folded Reload
	v_add_f64_e32 v[40:41], v[52:53], v[56:57]
	scratch_load_b64 v[56:57], off, off offset:580 th:TH_LOAD_LU ; 8-byte Folded Reload
	v_mul_f64_e32 v[52:53], s[0:1], v[151:152]
	s_delay_alu instid0(VALU_DEP_1) | instskip(SKIP_3) | instid1(VALU_DEP_1)
	v_add_f64_e32 v[52:53], v[217:218], v[52:53]
	s_wait_loadcnt 0x0
	v_add_f64_e32 v[54:55], v[56:57], v[54:55]
	v_mul_f64_e32 v[56:57], s[20:21], v[120:121]
	v_add_f64_e32 v[56:57], v[58:59], v[56:57]
	v_mul_f64_e32 v[58:59], s[26:27], v[112:113]
	s_delay_alu instid0(VALU_DEP_1) | instskip(SKIP_1) | instid1(VALU_DEP_1)
	v_add_f64_e32 v[58:59], v[60:61], v[58:59]
	v_mul_f64_e32 v[60:61], s[22:23], v[100:101]
	v_add_f64_e32 v[60:61], v[62:63], v[60:61]
	v_mul_f64_e32 v[62:63], s[0:1], v[124:125]
	s_delay_alu instid0(VALU_DEP_2) | instskip(NEXT) | instid1(VALU_DEP_2)
	v_add_f64_e32 v[44:45], v[60:61], v[44:45]
	v_add_f64_e64 v[62:63], v[62:63], -v[66:67]
	v_mul_f64_e32 v[66:67], s[6:7], v[116:117]
	v_mul_f64_e32 v[60:61], s[20:21], v[108:109]
	s_delay_alu instid0(VALU_DEP_4) | instskip(SKIP_1) | instid1(VALU_DEP_4)
	v_add_f64_e32 v[44:45], v[58:59], v[44:45]
	v_mul_f64_e32 v[58:59], s[16:17], v[147:148]
	v_add_f64_e64 v[66:67], v[66:67], -v[68:69]
	v_mul_f64_e32 v[68:69], s[22:23], v[96:97]
	s_delay_alu instid0(VALU_DEP_4) | instskip(SKIP_1) | instid1(VALU_DEP_3)
	v_add_f64_e32 v[44:45], v[56:57], v[44:45]
	v_mul_f64_e32 v[56:57], s[16:17], v[132:133]
	v_add_f64_e64 v[68:69], v[68:69], -v[84:85]
	v_mul_f64_e32 v[84:85], s[26:27], v[104:105]
	s_delay_alu instid0(VALU_DEP_4) | instskip(SKIP_1) | instid1(VALU_DEP_4)
	v_add_f64_e32 v[44:45], v[54:55], v[44:45]
	v_mul_f64_e32 v[54:55], s[24:25], v[155:156]
	v_add_f64_e32 v[46:47], v[68:69], v[46:47]
	scratch_load_b64 v[68:69], off, off offset:292 th:TH_LOAD_LU ; 8-byte Folded Reload
	v_add_f64_e64 v[84:85], v[84:85], -v[86:87]
	scratch_load_b64 v[86:87], off, off offset:324 th:TH_LOAD_LU ; 8-byte Folded Reload
	v_add_f64_e32 v[44:45], v[52:53], v[44:45]
	v_mul_f64_e32 v[52:53], s[24:25], v[143:144]
	v_add_f64_e32 v[46:47], v[84:85], v[46:47]
	scratch_load_b64 v[84:85], off, off offset:284 th:TH_LOAD_LU ; 8-byte Folded Reload
	s_wait_loadcnt 0x2
	v_add_f64_e64 v[60:61], v[60:61], -v[68:69]
	scratch_load_b64 v[68:69], off, off offset:452 th:TH_LOAD_LU ; 8-byte Folded Reload
	v_add_f64_e32 v[46:47], v[60:61], v[46:47]
	scratch_load_b64 v[60:61], off, off offset:396 th:TH_LOAD_LU ; 8-byte Folded Reload
	v_add_f64_e32 v[46:47], v[66:67], v[46:47]
	;; [unrolled: 2-line block ×3, first 2 shown]
	scratch_load_b64 v[62:63], off, off offset:380 th:TH_LOAD_LU ; 8-byte Folded Reload
	s_wait_loadcnt 0x3
	v_add_f64_e32 v[58:59], v[68:69], v[58:59]
	scratch_load_b64 v[68:69], off, off offset:500 th:TH_LOAD_LU ; 8-byte Folded Reload
	s_wait_loadcnt 0x3
	v_add_f64_e64 v[56:57], v[56:57], -v[60:61]
	scratch_load_b64 v[60:61], off, off offset:436 th:TH_LOAD_LU ; 8-byte Folded Reload
	v_add_f64_e32 v[44:45], v[58:59], v[44:45]
	scratch_load_b64 v[58:59], off, off offset:548 th:TH_LOAD_LU ; 8-byte Folded Reload
	v_add_f64_e32 v[56:57], v[56:57], v[46:47]
	s_wait_loadcnt 0x1
	v_add_f64_e32 v[54:55], v[60:61], v[54:55]
	scratch_load_b64 v[60:61], off, off offset:364 th:TH_LOAD_LU ; 8-byte Folded Reload
	v_add_f64_e32 v[46:47], v[54:55], v[44:45]
	v_mul_f64_e32 v[54:55], s[10:11], v[128:129]
	s_delay_alu instid0(VALU_DEP_1)
	v_add_f64_e32 v[54:55], v[207:208], v[54:55]
	s_wait_loadcnt 0x0
	v_add_f64_e64 v[52:53], v[52:53], -v[60:61]
	scratch_load_b64 v[60:61], off, off offset:468 th:TH_LOAD_LU ; 8-byte Folded Reload
	v_add_f64_e32 v[44:45], v[52:53], v[56:57]
	v_mul_f64_e32 v[56:57], s[0:1], v[120:121]
	v_mul_f64_e32 v[52:53], s[24:25], v[151:152]
	s_delay_alu instid0(VALU_DEP_2) | instskip(SKIP_1) | instid1(VALU_DEP_3)
	v_add_f64_e32 v[56:57], v[58:59], v[56:57]
	v_mul_f64_e32 v[58:59], s[20:21], v[112:113]
	v_add_f64_e32 v[52:53], v[233:234], v[52:53]
	s_wait_loadcnt 0x0
	s_delay_alu instid0(VALU_DEP_2) | instskip(SKIP_1) | instid1(VALU_DEP_1)
	v_add_f64_e32 v[58:59], v[60:61], v[58:59]
	v_mul_f64_e32 v[60:61], s[26:27], v[100:101]
	v_add_f64_e32 v[60:61], v[62:63], v[60:61]
	v_mul_f64_e32 v[62:63], s[24:25], v[124:125]
	s_delay_alu instid0(VALU_DEP_2) | instskip(NEXT) | instid1(VALU_DEP_2)
	v_add_f64_e32 v[48:49], v[60:61], v[48:49]
	v_add_f64_e64 v[62:63], v[62:63], -v[66:67]
	v_mul_f64_e32 v[66:67], s[10:11], v[116:117]
	v_mul_f64_e32 v[60:61], s[0:1], v[108:109]
	s_delay_alu instid0(VALU_DEP_4) | instskip(SKIP_1) | instid1(VALU_DEP_4)
	v_add_f64_e32 v[48:49], v[58:59], v[48:49]
	v_mul_f64_e32 v[58:59], s[22:23], v[147:148]
	v_add_f64_e64 v[66:67], v[66:67], -v[68:69]
	v_mul_f64_e32 v[68:69], s[26:27], v[96:97]
	s_delay_alu instid0(VALU_DEP_4) | instskip(SKIP_1) | instid1(VALU_DEP_3)
	v_add_f64_e32 v[48:49], v[56:57], v[48:49]
	v_mul_f64_e32 v[56:57], s[22:23], v[132:133]
	v_add_f64_e64 v[68:69], v[68:69], -v[84:85]
	v_mul_f64_e32 v[84:85], s[20:21], v[104:105]
	s_delay_alu instid0(VALU_DEP_4) | instskip(SKIP_1) | instid1(VALU_DEP_4)
	v_add_f64_e32 v[48:49], v[54:55], v[48:49]
	v_mul_f64_e32 v[54:55], s[6:7], v[155:156]
	v_add_f64_e32 v[50:51], v[68:69], v[50:51]
	scratch_load_b64 v[68:69], off, off offset:348 th:TH_LOAD_LU ; 8-byte Folded Reload
	v_add_f64_e64 v[84:85], v[84:85], -v[86:87]
	scratch_load_b64 v[86:87], off, off offset:404 th:TH_LOAD_LU ; 8-byte Folded Reload
	v_add_f64_e32 v[48:49], v[52:53], v[48:49]
	v_mul_f64_e32 v[52:53], s[6:7], v[143:144]
	v_add_f64_e32 v[50:51], v[84:85], v[50:51]
	scratch_load_b64 v[84:85], off, off offset:340 th:TH_LOAD_LU ; 8-byte Folded Reload
	s_wait_loadcnt 0x2
	v_add_f64_e64 v[60:61], v[60:61], -v[68:69]
	scratch_load_b64 v[68:69], off, off offset:556 th:TH_LOAD_LU ; 8-byte Folded Reload
	v_add_f64_e32 v[50:51], v[60:61], v[50:51]
	scratch_load_b64 v[60:61], off, off offset:484 th:TH_LOAD_LU ; 8-byte Folded Reload
	v_add_f64_e32 v[50:51], v[66:67], v[50:51]
	v_mul_f64_e32 v[66:67], s[26:27], v[116:117]
	s_delay_alu instid0(VALU_DEP_2) | instskip(NEXT) | instid1(VALU_DEP_2)
	v_add_f64_e32 v[50:51], v[62:63], v[50:51]
	v_add_f64_e64 v[66:67], v[66:67], -v[199:200]
	scratch_load_b64 v[62:63], off, off offset:476 th:TH_LOAD_LU ; 8-byte Folded Reload
	s_wait_loadcnt 0x2
	v_add_f64_e32 v[58:59], v[68:69], v[58:59]
	v_mul_f64_e32 v[68:69], s[24:25], v[96:97]
	s_delay_alu instid0(VALU_DEP_2) | instskip(NEXT) | instid1(VALU_DEP_2)
	v_add_f64_e32 v[48:49], v[58:59], v[48:49]
	v_add_f64_e64 v[68:69], v[68:69], -v[84:85]
	v_mul_f64_e32 v[84:85], s[6:7], v[104:105]
	v_mul_f64_e32 v[58:59], s[6:7], v[112:113]
	s_delay_alu instid0(VALU_DEP_3) | instskip(NEXT) | instid1(VALU_DEP_3)
	v_add_f64_e32 v[68:69], v[68:69], v[82:83]
	v_add_f64_e64 v[84:85], v[84:85], -v[86:87]
	scratch_load_b64 v[86:87], off, off offset:524 th:TH_LOAD_LU ; 8-byte Folded Reload
	s_wait_loadcnt 0x2
	v_add_f64_e64 v[56:57], v[56:57], -v[60:61]
	s_clause 0x1
	scratch_load_b64 v[60:61], off, off offset:540 th:TH_LOAD_LU
	scratch_load_b64 v[82:83], off, off offset:428 th:TH_LOAD_LU
	v_add_f64_e32 v[56:57], v[56:57], v[50:51]
	s_wait_loadcnt 0x1
	v_add_f64_e32 v[54:55], v[60:61], v[54:55]
	scratch_load_b64 v[60:61], off, off offset:460 th:TH_LOAD_LU ; 8-byte Folded Reload
	v_add_f64_e32 v[50:51], v[54:55], v[48:49]
	v_mul_f64_e32 v[54:55], s[26:27], v[128:129]
	s_delay_alu instid0(VALU_DEP_1)
	v_add_f64_e32 v[54:55], v[241:242], v[54:55]
	s_wait_loadcnt 0x0
	v_add_f64_e64 v[52:53], v[52:53], -v[60:61]
	scratch_load_b64 v[60:61], off, off offset:572 th:TH_LOAD_LU ; 8-byte Folded Reload
	v_add_f64_e32 v[48:49], v[52:53], v[56:57]
	v_mul_f64_e32 v[56:57], s[10:11], v[120:121]
	v_mul_f64_e32 v[52:53], s[16:17], v[151:152]
	s_delay_alu instid0(VALU_DEP_2) | instskip(NEXT) | instid1(VALU_DEP_2)
	v_add_f64_e32 v[56:57], v[213:214], v[56:57]
	v_add_f64_e32 v[52:53], v[253:254], v[52:53]
	s_wait_loadcnt 0x0
	v_add_f64_e32 v[58:59], v[60:61], v[58:59]
	v_mul_f64_e32 v[60:61], s[24:25], v[100:101]
	s_delay_alu instid0(VALU_DEP_1) | instskip(SKIP_1) | instid1(VALU_DEP_2)
	v_add_f64_e32 v[60:61], v[62:63], v[60:61]
	v_mul_f64_e32 v[62:63], s[16:17], v[124:125]
	v_add_f64_e32 v[60:61], v[60:61], v[80:81]
	v_mul_f64_e32 v[80:81], s[10:11], v[108:109]
	s_delay_alu instid0(VALU_DEP_3) | instskip(NEXT) | instid1(VALU_DEP_3)
	v_add_f64_e64 v[62:63], v[62:63], -v[227:228]
	v_add_f64_e32 v[58:59], v[58:59], v[60:61]
	v_add_f64_e32 v[60:61], v[84:85], v[68:69]
	scratch_load_b64 v[84:85], off, off offset:420 th:TH_LOAD_LU ; 8-byte Folded Reload
	v_add_f64_e64 v[80:81], v[80:81], -v[82:83]
	v_mul_f64_e32 v[68:69], s[0:1], v[147:148]
	v_mul_f64_e32 v[82:83], s[20:21], v[96:97]
	v_add_f64_e32 v[56:57], v[56:57], v[58:59]
	s_delay_alu instid0(VALU_DEP_4) | instskip(NEXT) | instid1(VALU_DEP_4)
	v_add_f64_e32 v[58:59], v[80:81], v[60:61]
	v_add_f64_e32 v[68:69], v[219:220], v[68:69]
	scratch_load_b64 v[80:81], off, off offset:596 th:TH_LOAD_LU ; 8-byte Folded Reload
	v_mul_f64_e32 v[60:61], s[0:1], v[132:133]
	v_add_f64_e32 v[54:55], v[54:55], v[56:57]
	v_add_f64_e32 v[56:57], v[66:67], v[58:59]
	v_mul_f64_e32 v[66:67], s[20:21], v[100:101]
	v_mul_f64_e32 v[58:59], s[22:23], v[155:156]
	s_delay_alu instid0(VALU_DEP_4) | instskip(NEXT) | instid1(VALU_DEP_4)
	v_add_f64_e32 v[52:53], v[52:53], v[54:55]
	v_add_f64_e32 v[54:55], v[62:63], v[56:57]
	scratch_load_b64 v[62:63], off, off offset:564 th:TH_LOAD_LU ; 8-byte Folded Reload
	v_mul_f64_e32 v[56:57], s[22:23], v[143:144]
	v_add_f64_e32 v[58:59], v[209:210], v[58:59]
	v_add_f64_e32 v[52:53], v[68:69], v[52:53]
	scratch_load_b64 v[68:69], off, off offset:588 th:TH_LOAD_LU ; 8-byte Folded Reload
	s_wait_loadcnt 0x3
	v_add_f64_e64 v[82:83], v[82:83], -v[84:85]
	v_mul_f64_e32 v[84:85], s[0:1], v[104:105]
	s_delay_alu instid0(VALU_DEP_1) | instskip(SKIP_4) | instid1(VALU_DEP_2)
	v_add_f64_e64 v[84:85], v[84:85], -v[86:87]
	scratch_load_b64 v[86:87], off, off offset:60 th:TH_LOAD_LU ; 8-byte Folded Reload
	s_wait_loadcnt 0x3
	v_add_f64_e64 v[60:61], v[60:61], -v[80:81]
	v_mul_f64_e32 v[80:81], s[16:17], v[116:117]
	v_add_f64_e32 v[60:61], v[60:61], v[54:55]
	v_add_f64_e32 v[54:55], v[58:59], v[52:53]
	v_mul_f64_e32 v[58:59], s[16:17], v[128:129]
	s_delay_alu instid0(VALU_DEP_4) | instskip(NEXT) | instid1(VALU_DEP_2)
	v_add_f64_e64 v[80:81], v[80:81], -v[225:226]
	v_add_f64_e32 v[58:59], v[102:103], v[58:59]
	s_wait_loadcnt 0x1
	v_add_f64_e32 v[66:67], v[68:69], v[66:67]
	v_mul_f64_e32 v[68:69], s[6:7], v[124:125]
	s_delay_alu instid0(VALU_DEP_2)
	v_add_f64_e32 v[66:67], v[66:67], v[76:77]
	v_add_f64_e32 v[76:77], v[82:83], v[78:79]
	scratch_load_b64 v[82:83], off, off offset:532 th:TH_LOAD_LU ; 8-byte Folded Reload
	v_add_f64_e64 v[56:57], v[56:57], -v[62:63]
	v_mul_f64_e32 v[62:63], s[0:1], v[112:113]
	v_mul_f64_e32 v[78:79], s[24:25], v[108:109]
	v_add_f64_e64 v[68:69], v[68:69], -v[247:248]
	s_delay_alu instid0(VALU_DEP_4) | instskip(NEXT) | instid1(VALU_DEP_4)
	v_add_f64_e32 v[52:53], v[56:57], v[60:61]
	v_add_f64_e32 v[62:63], v[223:224], v[62:63]
	v_mul_f64_e32 v[60:61], s[24:25], v[120:121]
	v_mul_f64_e32 v[56:57], s[6:7], v[151:152]
	s_delay_alu instid0(VALU_DEP_3)
	v_add_f64_e32 v[62:63], v[62:63], v[66:67]
	v_add_f64_e32 v[66:67], v[84:85], v[76:77]
	scratch_load_b64 v[84:85], off, off offset:516 th:TH_LOAD_LU ; 8-byte Folded Reload
	v_add_f64_e32 v[60:61], v[243:244], v[60:61]
	v_add_f64_e32 v[56:57], v[114:115], v[56:57]
	v_mul_f64_e32 v[76:77], s[26:27], v[147:148]
	s_delay_alu instid0(VALU_DEP_3) | instskip(NEXT) | instid1(VALU_DEP_2)
	v_add_f64_e32 v[60:61], v[60:61], v[62:63]
	v_add_f64_e32 v[76:77], v[235:236], v[76:77]
	s_delay_alu instid0(VALU_DEP_2) | instskip(NEXT) | instid1(VALU_DEP_1)
	v_add_f64_e32 v[58:59], v[58:59], v[60:61]
	v_add_f64_e32 v[56:57], v[56:57], v[58:59]
	s_delay_alu instid0(VALU_DEP_1) | instskip(SKIP_1) | instid1(VALU_DEP_1)
	v_add_f64_e32 v[56:57], v[76:77], v[56:57]
	v_mul_f64_e32 v[76:77], s[10:11], v[100:101]
	v_add_f64_e32 v[76:77], v[211:212], v[76:77]
	s_delay_alu instid0(VALU_DEP_1) | instskip(SKIP_4) | instid1(VALU_DEP_3)
	v_add_f64_e32 v[72:73], v[76:77], v[72:73]
	v_mul_f64_e32 v[76:77], s[22:23], v[108:109]
	s_wait_loadcnt 0x1
	v_add_f64_e64 v[78:79], v[78:79], -v[82:83]
	v_mul_f64_e32 v[82:83], s[10:11], v[96:97]
	v_add_f64_e64 v[76:77], v[76:77], -v[201:202]
	s_delay_alu instid0(VALU_DEP_3) | instskip(SKIP_2) | instid1(VALU_DEP_3)
	v_add_f64_e32 v[62:63], v[78:79], v[66:67]
	v_mul_f64_e32 v[66:67], s[26:27], v[132:133]
	v_mul_f64_e32 v[78:79], s[26:27], v[124:125]
	v_add_f64_e32 v[60:61], v[80:81], v[62:63]
	s_delay_alu instid0(VALU_DEP_3)
	v_add_f64_e64 v[66:67], v[66:67], -v[221:222]
	v_mul_f64_e32 v[62:63], s[10:11], v[155:156]
	v_mul_f64_e32 v[80:81], s[0:1], v[116:117]
	s_wait_loadcnt 0x0
	v_add_f64_e64 v[82:83], v[82:83], -v[84:85]
	v_mul_f64_e32 v[84:85], s[16:17], v[104:105]
	v_add_f64_e64 v[78:79], v[78:79], -v[106:107]
	v_add_f64_e32 v[58:59], v[68:69], v[60:61]
	v_mul_f64_e32 v[60:61], s[10:11], v[143:144]
	v_add_f64_e32 v[62:63], v[231:232], v[62:63]
	v_mul_f64_e32 v[68:69], s[16:17], v[112:113]
	v_add_f64_e32 v[74:75], v[82:83], v[74:75]
	v_add_f64_e64 v[84:85], v[84:85], -v[197:198]
	v_add_f64_e64 v[80:81], v[80:81], -v[245:246]
	v_add_f64_e32 v[66:67], v[66:67], v[58:59]
	v_add_f64_e64 v[60:61], v[60:61], -v[205:206]
	v_add_f64_e32 v[58:59], v[62:63], v[56:57]
	v_add_f64_e32 v[68:69], v[239:240], v[68:69]
	v_mul_f64_e32 v[62:63], s[0:1], v[128:129]
	s_delay_alu instid0(VALU_DEP_4) | instskip(SKIP_1) | instid1(VALU_DEP_4)
	v_add_f64_e32 v[56:57], v[60:61], v[66:67]
	v_mul_f64_e32 v[66:67], s[22:23], v[120:121]
	v_add_f64_e32 v[68:69], v[68:69], v[72:73]
	v_mul_f64_e32 v[60:61], s[26:27], v[151:152]
	v_add_f64_e32 v[62:63], v[110:111], v[62:63]
	v_add_f64_e32 v[72:73], v[84:85], v[74:75]
	v_mul_f64_e32 v[74:75], s[6:7], v[147:148]
	s_clause 0x1
	scratch_load_b64 v[84:85], off, off offset:44 th:TH_LOAD_LU
	scratch_load_b64 v[82:83], off, off offset:20 th:TH_LOAD_LU
	v_add_f64_e32 v[66:67], v[98:99], v[66:67]
	v_add_f64_e32 v[60:61], v[118:119], v[60:61]
	;; [unrolled: 1-line block ×3, first 2 shown]
	s_delay_alu instid0(VALU_DEP_3) | instskip(SKIP_2) | instid1(VALU_DEP_3)
	v_add_f64_e32 v[66:67], v[66:67], v[68:69]
	v_add_f64_e32 v[68:69], v[76:77], v[72:73]
	v_mul_f64_e32 v[72:73], s[6:7], v[132:133]
	v_add_f64_e32 v[62:63], v[62:63], v[66:67]
	s_delay_alu instid0(VALU_DEP_3) | instskip(SKIP_1) | instid1(VALU_DEP_4)
	v_add_f64_e32 v[66:67], v[80:81], v[68:69]
	v_mul_f64_e32 v[68:69], s[20:21], v[155:156]
	v_add_f64_e64 v[72:73], v[72:73], -v[237:238]
	s_clause 0x1
	scratch_load_b64 v[80:81], off, off offset:108 th:TH_LOAD_LU
	scratch_load_b64 v[76:77], off, off offset:76 th:TH_LOAD_LU
	v_add_f64_e32 v[60:61], v[60:61], v[62:63]
	v_add_f64_e32 v[62:63], v[78:79], v[66:67]
	;; [unrolled: 1-line block ×3, first 2 shown]
	v_mul_f64_e32 v[66:67], s[20:21], v[143:144]
	scratch_load_b64 v[78:79], off, off offset:36 th:TH_LOAD_LU ; 8-byte Folded Reload
	v_add_f64_e32 v[60:61], v[74:75], v[60:61]
	v_add_f64_e32 v[72:73], v[72:73], v[62:63]
	scratch_load_b64 v[74:75], off, off offset:100 th:TH_LOAD_LU ; 8-byte Folded Reload
	v_add_f64_e64 v[66:67], v[66:67], -v[229:230]
	v_add_f64_e32 v[62:63], v[68:69], v[60:61]
	scratch_load_b64 v[68:69], off, off offset:164 th:TH_LOAD_LU ; 8-byte Folded Reload
	v_add_f64_e32 v[60:61], v[66:67], v[72:73]
	scratch_load_b64 v[72:73], off, off offset:116 th:TH_LOAD_LU ; 8-byte Folded Reload
	v_mul_f64_e32 v[66:67], s[22:23], v[151:152]
	s_wait_loadcnt 0x1
	s_delay_alu instid0(VALU_DEP_1) | instskip(SKIP_2) | instid1(VALU_DEP_1)
	v_add_f64_e32 v[66:67], v[68:69], v[66:67]
	v_mul_f64_e32 v[68:69], s[20:21], v[128:129]
	s_wait_loadcnt 0x0
	v_add_f64_e32 v[68:69], v[72:73], v[68:69]
	v_mul_f64_e32 v[72:73], s[16:17], v[120:121]
	s_delay_alu instid0(VALU_DEP_1) | instskip(SKIP_1) | instid1(VALU_DEP_1)
	v_add_f64_e32 v[72:73], v[74:75], v[72:73]
	v_mul_f64_e32 v[74:75], s[10:11], v[112:113]
	v_add_f64_e32 v[74:75], v[76:77], v[74:75]
	v_mul_f64_e32 v[76:77], s[6:7], v[100:101]
	s_delay_alu instid0(VALU_DEP_1) | instskip(SKIP_1) | instid1(VALU_DEP_2)
	v_add_f64_e32 v[76:77], v[78:79], v[76:77]
	v_mul_f64_e32 v[78:79], s[22:23], v[124:125]
	v_add_f64_e32 v[64:65], v[76:77], v[64:65]
	s_delay_alu instid0(VALU_DEP_2) | instskip(SKIP_2) | instid1(VALU_DEP_4)
	v_add_f64_e64 v[78:79], v[78:79], -v[80:81]
	v_mul_f64_e32 v[80:81], s[6:7], v[96:97]
	v_mul_f64_e32 v[76:77], s[20:21], v[116:117]
	v_add_f64_e32 v[64:65], v[74:75], v[64:65]
	v_mul_f64_e32 v[74:75], s[24:25], v[147:148]
	s_delay_alu instid0(VALU_DEP_4) | instskip(SKIP_1) | instid1(VALU_DEP_4)
	v_add_f64_e64 v[80:81], v[80:81], -v[82:83]
	v_mul_f64_e32 v[82:83], s[10:11], v[104:105]
	v_add_f64_e32 v[64:65], v[72:73], v[64:65]
	v_mul_f64_e32 v[72:73], s[24:25], v[132:133]
	s_delay_alu instid0(VALU_DEP_4) | instskip(SKIP_4) | instid1(VALU_DEP_3)
	v_add_f64_e32 v[70:71], v[80:81], v[70:71]
	scratch_load_b64 v[80:81], off, off offset:92 th:TH_LOAD_LU ; 8-byte Folded Reload
	v_add_f64_e64 v[82:83], v[82:83], -v[84:85]
	v_mul_f64_e32 v[84:85], s[16:17], v[108:109]
	v_add_f64_e32 v[64:65], v[68:69], v[64:65]
	v_add_f64_e32 v[70:71], v[82:83], v[70:71]
	s_delay_alu instid0(VALU_DEP_3) | instskip(NEXT) | instid1(VALU_DEP_3)
	v_add_f64_e64 v[84:85], v[84:85], -v[86:87]
	v_add_f64_e32 v[64:65], v[66:67], v[64:65]
	s_delay_alu instid0(VALU_DEP_2)
	v_add_f64_e32 v[70:71], v[84:85], v[70:71]
	s_wait_loadcnt 0x0
	v_add_f64_e64 v[76:77], v[76:77], -v[80:81]
	scratch_load_b64 v[80:81], off, off offset:156 th:TH_LOAD_LU ; 8-byte Folded Reload
	v_add_f64_e32 v[68:69], v[76:77], v[70:71]
	scratch_load_b64 v[76:77], off, off offset:172 th:TH_LOAD_LU ; 8-byte Folded Reload
	v_mul_f64_e32 v[70:71], s[26:27], v[155:156]
	v_add_f64_e32 v[66:67], v[78:79], v[68:69]
	v_mul_f64_e32 v[68:69], s[26:27], v[143:144]
	s_wait_loadcnt 0x1
	v_add_f64_e32 v[74:75], v[80:81], v[74:75]
	scratch_load_b64 v[80:81], off, off offset:124 th:TH_LOAD_LU ; 8-byte Folded Reload
	s_wait_loadcnt 0x1
	v_add_f64_e32 v[70:71], v[76:77], v[70:71]
	scratch_load_b64 v[76:77], off, off offset:148 th:TH_LOAD_LU ; 8-byte Folded Reload
	v_add_f64_e32 v[64:65], v[74:75], v[64:65]
	s_wait_loadcnt 0x1
	v_add_f64_e64 v[72:73], v[72:73], -v[80:81]
	s_wait_loadcnt 0x0
	v_add_f64_e64 v[68:69], v[68:69], -v[76:77]
	s_delay_alu instid0(VALU_DEP_2) | instskip(NEXT) | instid1(VALU_DEP_4)
	v_add_f64_e32 v[72:73], v[72:73], v[66:67]
	v_add_f64_e32 v[66:67], v[70:71], v[64:65]
	s_delay_alu instid0(VALU_DEP_2) | instskip(SKIP_3) | instid1(VALU_DEP_1)
	v_add_f64_e32 v[64:65], v[68:69], v[72:73]
	scratch_load_b32 v68, off, off offset:16 ; 4-byte Folded Reload
	s_wait_loadcnt 0x0
	v_and_b32_e32 v68, 0xffff, v68
	v_add_lshl_u32 v68, v192, v68, 4
	ds_store_b128 v68, v[40:43] offset:32
	ds_store_b128 v68, v[24:27] offset:160
	;; [unrolled: 1-line block ×15, first 2 shown]
	ds_store_b128 v68, v[32:35]
	ds_store_b128 v68, v[0:3] offset:256
.LBB0_7:
	s_or_b32 exec_lo, exec_lo, s33
	scratch_load_b32 v41, off, off          ; 4-byte Folded Reload
	s_load_b128 s[4:7], s[4:5], 0x0
	global_wb scope:SCOPE_SE
	s_wait_storecnt 0x0
	s_wait_loadcnt_dscnt 0x0
	s_wait_kmcnt 0x0
	s_barrier_signal -1
	s_barrier_wait -1
	global_inv scope:SCOPE_SE
	s_mov_b32 s1, 0xbfee6f0e
	s_mov_b32 s14, 0x4755a5e
	;; [unrolled: 1-line block ×4, first 2 shown]
	s_wait_alu 0xfffe
	s_mov_b32 s10, s14
	s_mov_b32 s16, 0x372fe950
	;; [unrolled: 1-line block ×5, first 2 shown]
	v_add_nc_u16 v28, v41, 34
	v_add_nc_u16 v29, v41, 0x44
	;; [unrolled: 1-line block ×4, first 2 shown]
	v_add_co_u32 v36, s0, 0xffffffef, v41
	v_and_b32_e32 v30, 0xff, v28
	v_and_b32_e32 v31, 0xff, v29
	v_and_b32_e32 v34, 0xff, v32
	v_and_b32_e32 v35, 0xff, v33
	s_wait_alu 0xf1ff
	v_add_co_ci_u32_e64 v37, null, 0, -1, s0
	v_mul_lo_u16 v30, 0xf1, v30
	v_mul_lo_u16 v31, 0xf1, v31
	;; [unrolled: 1-line block ×3, first 2 shown]
	v_cmp_gt_u16_e64 s0, 17, v41
	v_mul_lo_u16 v35, 0xf1, v35
	v_lshrrev_b16 v30, 12, v30
	v_lshrrev_b16 v31, 12, v31
	;; [unrolled: 1-line block ×3, first 2 shown]
	s_wait_alu 0xf1ff
	v_cndmask_b32_e64 v89, v37, 0, s0
	v_cndmask_b32_e64 v88, v36, v41, s0
	v_mul_lo_u16 v37, v30, 17
	v_mul_lo_u16 v38, v31, 17
	v_lshrrev_b16 v35, 12, v35
	v_add_lshl_u32 v142, v192, v41, 4
	s_delay_alu instid0(VALU_DEP_4) | instskip(NEXT) | instid1(VALU_DEP_4)
	v_sub_nc_u16 v36, v28, v37
	v_sub_nc_u16 v37, v29, v38
	v_mul_lo_u16 v38, v34, 17
	v_lshlrev_b64_e32 v[28:29], 4, v[88:89]
	v_mul_lo_u16 v39, v35, 17
	v_and_b32_e32 v40, 0xff, v36
	v_and_b32_e32 v37, 0xff, v37
	v_sub_nc_u16 v32, v32, v38
	v_mad_u16 v30, v30, 34, v36
	v_sub_nc_u16 v33, v33, v39
	v_add_co_u32 v28, s0, s2, v28
	s_wait_alu 0xf1ff
	v_add_co_ci_u32_e64 v29, s0, s3, v29, s0
	v_and_b32_e32 v32, 0xff, v32
	v_lshlrev_b32_e32 v38, 4, v40
	v_and_b32_e32 v33, 0xff, v33
	global_load_b128 v[206:209], v[28:29], off
	v_lshlrev_b32_e32 v39, 4, v37
	v_cmp_lt_u16_e64 s0, 16, v41
	global_load_b128 v[242:245], v38, s[2:3]
	v_lshlrev_b32_e32 v28, 4, v32
	v_lshlrev_b32_e32 v29, 4, v33
	s_clause 0x2
	global_load_b128 v[246:249], v39, s[2:3]
	global_load_b128 v[144:147], v28, s[2:3]
	global_load_b128 v[44:47], v29, s[2:3]
	ds_load_b128 v[48:51], v142 offset:2720
	ds_load_b128 v[52:55], v142 offset:3264
	;; [unrolled: 1-line block ×6, first 2 shown]
	s_wait_alu 0xf1ff
	v_cndmask_b32_e64 v28, 0, 34, s0
	v_and_b32_e32 v29, 0xffff, v31
	v_and_b32_e32 v31, 0xffff, v34
	;; [unrolled: 1-line block ×3, first 2 shown]
	s_delay_alu instid0(VALU_DEP_4) | instskip(NEXT) | instid1(VALU_DEP_4)
	v_add_nc_u32_e32 v28, v88, v28
	v_mul_u32_u24_e32 v29, 34, v29
	s_delay_alu instid0(VALU_DEP_4) | instskip(NEXT) | instid1(VALU_DEP_4)
	v_mul_u32_u24_e32 v31, 34, v31
	v_mul_u32_u24_e32 v34, 34, v34
	s_delay_alu instid0(VALU_DEP_4) | instskip(SKIP_4) | instid1(VALU_DEP_4)
	v_add_lshl_u32 v237, v192, v28, 4
	v_and_b32_e32 v28, 0xff, v30
	v_add_nc_u32_e32 v29, v29, v37
	v_add_nc_u32_e32 v30, v31, v32
	v_add_nc_u32_e32 v31, v34, v33
	v_add_lshl_u32 v236, v192, v28, 4
	s_delay_alu instid0(VALU_DEP_4) | instskip(NEXT) | instid1(VALU_DEP_4)
	v_add_lshl_u32 v235, v192, v29, 4
	v_add_lshl_u32 v234, v192, v30, 4
	s_delay_alu instid0(VALU_DEP_4)
	v_add_lshl_u32 v148, v192, v31, 4
	s_wait_loadcnt_dscnt 0x405
	v_mul_f64_e32 v[72:73], v[50:51], v[208:209]
	v_mul_f64_e32 v[74:75], v[48:49], v[208:209]
	s_wait_loadcnt_dscnt 0x304
	v_mul_f64_e32 v[76:77], v[54:55], v[244:245]
	v_mul_f64_e32 v[78:79], v[52:53], v[244:245]
	;; [unrolled: 3-line block ×5, first 2 shown]
	v_fma_f64 v[72:73], v[48:49], v[206:207], -v[72:73]
	v_fma_f64 v[74:75], v[50:51], v[206:207], v[74:75]
	v_fma_f64 v[76:77], v[52:53], v[242:243], -v[76:77]
	v_fma_f64 v[78:79], v[54:55], v[242:243], v[78:79]
	;; [unrolled: 2-line block ×5, first 2 shown]
	ds_load_b128 v[48:51], v142
	ds_load_b128 v[52:55], v142 offset:544
	ds_load_b128 v[56:59], v142 offset:1088
	;; [unrolled: 1-line block ×3, first 2 shown]
	global_wb scope:SCOPE_SE
	s_wait_dscnt 0x0
	s_barrier_signal -1
	s_barrier_wait -1
	global_inv scope:SCOPE_SE
	v_add_f64_e64 v[64:65], v[48:49], -v[72:73]
	v_add_f64_e64 v[66:67], v[50:51], -v[74:75]
	;; [unrolled: 1-line block ×10, first 2 shown]
	v_mad_co_u64_u32 v[89:90], null, 0x90, v41, s[2:3]
	s_mov_b32 s2, 0x134454ff
	s_mov_b32 s3, 0x3fee6f0e
	s_wait_alu 0xfffe
	s_mov_b32 s0, s2
	v_fma_f64 v[48:49], v[48:49], 2.0, -v[64:65]
	v_fma_f64 v[50:51], v[50:51], 2.0, -v[66:67]
	;; [unrolled: 1-line block ×10, first 2 shown]
	ds_store_b128 v237, v[48:51]
	ds_store_b128 v237, v[64:67] offset:272
	ds_store_b128 v236, v[52:55]
	ds_store_b128 v236, v[72:75] offset:272
	;; [unrolled: 2-line block ×5, first 2 shown]
	global_wb scope:SCOPE_SE
	s_wait_dscnt 0x0
	s_barrier_signal -1
	s_barrier_wait -1
	global_inv scope:SCOPE_SE
	s_clause 0x8
	global_load_b128 v[218:221], v[89:90], off offset:304
	global_load_b128 v[226:229], v[89:90], off offset:336
	;; [unrolled: 1-line block ×9, first 2 shown]
	ds_load_b128 v[84:87], v142 offset:1632
	ds_load_b128 v[88:91], v142 offset:2720
	;; [unrolled: 1-line block ×6, first 2 shown]
	s_wait_loadcnt_dscnt 0x805
	v_mul_f64_e32 v[108:109], v[86:87], v[220:221]
	v_mul_f64_e32 v[110:111], v[84:85], v[220:221]
	s_wait_loadcnt_dscnt 0x704
	v_mul_f64_e32 v[112:113], v[90:91], v[228:229]
	v_mul_f64_e32 v[114:115], v[88:89], v[228:229]
	s_wait_loadcnt_dscnt 0x603
	v_mul_f64_e32 v[116:117], v[92:93], v[224:225]
	s_wait_loadcnt_dscnt 0x502
	v_mul_f64_e32 v[118:119], v[96:97], v[232:233]
	v_mul_f64_e32 v[120:121], v[98:99], v[232:233]
	;; [unrolled: 1-line block ×3, first 2 shown]
	s_wait_loadcnt_dscnt 0x401
	v_mul_f64_e32 v[124:125], v[102:103], v[66:67]
	v_mul_f64_e32 v[126:127], v[100:101], v[66:67]
	v_fma_f64 v[108:109], v[84:85], v[218:219], -v[108:109]
	v_fma_f64 v[110:111], v[86:87], v[218:219], v[110:111]
	v_fma_f64 v[112:113], v[88:89], v[226:227], -v[112:113]
	v_fma_f64 v[114:115], v[90:91], v[226:227], v[114:115]
	v_fma_f64 v[116:117], v[94:95], v[222:223], v[116:117]
	;; [unrolled: 1-line block ×3, first 2 shown]
	v_fma_f64 v[96:97], v[96:97], v[230:231], -v[120:121]
	v_fma_f64 v[118:119], v[92:93], v[222:223], -v[122:123]
	ds_load_b128 v[84:87], v142 offset:2176
	ds_load_b128 v[88:91], v142 offset:3264
	;; [unrolled: 1-line block ×3, first 2 shown]
	scratch_load_b32 v28, off, off offset:12 ; 4-byte Folded Reload
	s_wait_loadcnt_dscnt 0x403
	v_mul_f64_e32 v[120:121], v[106:107], v[82:83]
	v_mul_f64_e32 v[122:123], v[104:105], v[82:83]
	v_fma_f64 v[100:101], v[100:101], v[64:65], -v[124:125]
	v_fma_f64 v[102:103], v[102:103], v[64:65], v[126:127]
	s_wait_loadcnt_dscnt 0x302
	v_mul_f64_e32 v[128:129], v[86:87], v[78:79]
	v_mul_f64_e32 v[130:131], v[84:85], v[78:79]
	s_wait_loadcnt_dscnt 0x201
	v_mul_f64_e32 v[132:133], v[90:91], v[74:75]
	s_wait_loadcnt_dscnt 0x100
	v_mul_f64_e32 v[134:135], v[94:95], v[70:71]
	v_mul_f64_e32 v[136:137], v[88:89], v[74:75]
	;; [unrolled: 1-line block ×3, first 2 shown]
	v_add_f64_e64 v[157:158], v[108:109], -v[112:113]
	v_add_f64_e64 v[161:162], v[112:113], -v[108:109]
	v_add_f64_e32 v[124:125], v[114:115], v[116:117]
	v_add_f64_e32 v[126:127], v[110:111], v[98:99]
	;; [unrolled: 1-line block ×4, first 2 shown]
	v_add_f64_e64 v[159:160], v[96:97], -v[118:119]
	v_add_f64_e64 v[163:164], v[118:119], -v[96:97]
	v_fma_f64 v[104:105], v[104:105], v[80:81], -v[120:121]
	v_fma_f64 v[106:107], v[106:107], v[80:81], v[122:123]
	v_add_f64_e64 v[165:166], v[110:111], -v[114:115]
	v_add_f64_e64 v[167:168], v[98:99], -v[116:117]
	;; [unrolled: 1-line block ×4, first 2 shown]
	v_fma_f64 v[120:121], v[84:85], v[76:77], -v[128:129]
	v_fma_f64 v[122:123], v[86:87], v[76:77], v[130:131]
	v_fma_f64 v[88:89], v[88:89], v[72:73], -v[132:133]
	v_fma_f64 v[92:93], v[92:93], v[68:69], -v[134:135]
	v_fma_f64 v[90:91], v[90:91], v[72:73], v[136:137]
	v_fma_f64 v[94:95], v[94:95], v[68:69], v[138:139]
	v_add_f64_e64 v[128:129], v[110:111], -v[98:99]
	v_add_f64_e64 v[130:131], v[114:115], -v[116:117]
	;; [unrolled: 1-line block ×4, first 2 shown]
	ds_load_b128 v[84:87], v142
	v_fma_f64 v[124:125], v[124:125], -0.5, v[102:103]
	v_fma_f64 v[126:127], v[126:127], -0.5, v[102:103]
	;; [unrolled: 1-line block ×4, first 2 shown]
	v_add_f64_e32 v[100:101], v[100:101], v[108:109]
	v_add_f64_e32 v[102:103], v[102:103], v[110:111]
	s_wait_dscnt 0x0
	v_add_f64_e32 v[181:182], v[84:85], v[104:105]
	v_add_f64_e32 v[187:188], v[86:87], v[106:107]
	;; [unrolled: 1-line block ×6, first 2 shown]
	v_add_f64_e64 v[183:184], v[106:107], -v[94:95]
	v_add_f64_e64 v[185:186], v[122:123], -v[90:91]
	;; [unrolled: 1-line block ×4, first 2 shown]
	s_wait_alu 0xfffe
	v_fma_f64 v[173:174], v[132:133], s[0:1], v[124:125]
	v_fma_f64 v[175:176], v[134:135], s[2:3], v[126:127]
	;; [unrolled: 1-line block ×8, first 2 shown]
	v_add_f64_e32 v[100:101], v[100:101], v[112:113]
	v_add_f64_e32 v[102:103], v[102:103], v[114:115]
	v_fma_f64 v[108:109], v[149:150], -0.5, v[84:85]
	v_fma_f64 v[84:85], v[151:152], -0.5, v[84:85]
	;; [unrolled: 1-line block ×4, first 2 shown]
	v_add_f64_e32 v[149:150], v[157:158], v[159:160]
	v_add_f64_e32 v[151:152], v[161:162], v[163:164]
	v_add_f64_e32 v[153:154], v[165:166], v[167:168]
	v_add_f64_e32 v[155:156], v[169:170], v[171:172]
	v_add_f64_e64 v[165:166], v[94:95], -v[90:91]
	v_add_f64_e64 v[167:168], v[90:91], -v[94:95]
	v_fma_f64 v[157:158], v[134:135], s[10:11], v[173:174]
	v_fma_f64 v[159:160], v[132:133], s[10:11], v[175:176]
	;; [unrolled: 1-line block ×8, first 2 shown]
	v_add_f64_e64 v[132:133], v[104:105], -v[120:121]
	v_add_f64_e64 v[134:135], v[92:93], -v[88:89]
	;; [unrolled: 1-line block ×6, first 2 shown]
	v_add_f64_e32 v[120:121], v[181:182], v[120:121]
	v_add_f64_e32 v[122:123], v[187:188], v[122:123]
	;; [unrolled: 1-line block ×4, first 2 shown]
	v_fma_f64 v[112:113], v[183:184], s[2:3], v[108:109]
	v_fma_f64 v[108:109], v[183:184], s[0:1], v[108:109]
	;; [unrolled: 1-line block ×16, first 2 shown]
	v_add_f64_e32 v[132:133], v[132:133], v[134:135]
	v_add_f64_e32 v[104:105], v[104:105], v[136:137]
	;; [unrolled: 1-line block ×6, first 2 shown]
	v_fma_f64 v[112:113], v[185:186], s[14:15], v[112:113]
	v_fma_f64 v[108:109], v[185:186], s[10:11], v[108:109]
	;; [unrolled: 1-line block ×8, first 2 shown]
	v_mul_f64_e32 v[120:121], s[14:15], v[157:158]
	v_mul_f64_e32 v[122:123], s[2:3], v[159:160]
	;; [unrolled: 1-line block ×8, first 2 shown]
	v_add_f64_e32 v[88:89], v[88:89], v[92:93]
	v_add_f64_e32 v[90:91], v[90:91], v[94:95]
	;; [unrolled: 1-line block ×4, first 2 shown]
	v_fma_f64 v[112:113], v[132:133], s[16:17], v[112:113]
	v_fma_f64 v[132:133], v[132:133], s[16:17], v[108:109]
	;; [unrolled: 1-line block ×10, first 2 shown]
	v_fma_f64 v[116:117], v[126:127], s[2:3], -v[136:137]
	v_fma_f64 v[122:123], v[124:125], s[14:15], -v[138:139]
	v_fma_f64 v[124:125], v[157:158], s[18:19], v[149:150]
	v_fma_f64 v[126:127], v[159:160], s[16:17], v[151:152]
	v_fma_f64 v[128:129], v[161:162], s[0:1], -v[153:154]
	v_fma_f64 v[130:131], v[163:164], s[10:11], -v[155:156]
	v_add_f64_e32 v[84:85], v[88:89], v[92:93]
	v_add_f64_e32 v[86:87], v[90:91], v[94:95]
	v_add_f64_e64 v[104:105], v[88:89], -v[92:93]
	v_add_f64_e64 v[106:107], v[90:91], -v[94:95]
	v_add_f64_e32 v[88:89], v[112:113], v[108:109]
	v_add_f64_e32 v[92:93], v[114:115], v[110:111]
	;; [unrolled: 1-line block ×8, first 2 shown]
	v_add_f64_e64 v[108:109], v[112:113], -v[108:109]
	v_add_f64_e64 v[112:113], v[114:115], -v[110:111]
	;; [unrolled: 1-line block ×8, first 2 shown]
	s_wait_loadcnt 0x0
	v_lshl_add_u32 v143, v41, 4, v28
	v_lshl_add_u32 v141, v41, 4, v28
	ds_store_b128 v143, v[84:87]
	ds_store_b128 v141, v[88:91] offset:544
	ds_store_b128 v141, v[92:95] offset:1088
	;; [unrolled: 1-line block ×9, first 2 shown]
	global_wb scope:SCOPE_SE
	s_wait_dscnt 0x0
	s_barrier_signal -1
	s_barrier_wait -1
	global_inv scope:SCOPE_SE
	s_and_saveexec_b32 s2, vcc_lo
	s_cbranch_execz .LBB0_9
; %bb.8:
	global_load_b128 v[136:139], v140, s[8:9] offset:5440
	s_add_nc_u64 s[0:1], s[8:9], 0x1540
	s_clause 0x6
	global_load_b128 v[124:127], v140, s[0:1] offset:320
	global_load_b128 v[128:131], v140, s[0:1] offset:640
	;; [unrolled: 1-line block ×7, first 2 shown]
	ds_load_b128 v[165:168], v143
	s_clause 0x1
	global_load_b128 v[169:172], v140, s[0:1] offset:2560
	global_load_b128 v[173:176], v140, s[0:1] offset:2880
	s_wait_loadcnt_dscnt 0x900
	v_mul_f64_e32 v[177:178], v[167:168], v[138:139]
	v_mul_f64_e32 v[138:139], v[165:166], v[138:139]
	s_delay_alu instid0(VALU_DEP_2) | instskip(NEXT) | instid1(VALU_DEP_2)
	v_fma_f64 v[165:166], v[165:166], v[136:137], -v[177:178]
	v_fma_f64 v[167:168], v[167:168], v[136:137], v[138:139]
	s_clause 0x1
	global_load_b128 v[136:139], v140, s[0:1] offset:3200
	global_load_b128 v[177:180], v140, s[0:1] offset:3520
	ds_store_b128 v143, v[165:168]
	ds_load_b128 v[165:168], v141 offset:320
	ds_load_b128 v[181:184], v141 offset:640
	s_wait_loadcnt_dscnt 0xa01
	v_mul_f64_e32 v[185:186], v[167:168], v[126:127]
	v_mul_f64_e32 v[126:127], v[165:166], v[126:127]
	s_wait_loadcnt_dscnt 0x900
	v_mul_f64_e32 v[189:190], v[183:184], v[130:131]
	v_mul_f64_e32 v[130:131], v[181:182], v[130:131]
	s_delay_alu instid0(VALU_DEP_4) | instskip(NEXT) | instid1(VALU_DEP_4)
	v_fma_f64 v[165:166], v[165:166], v[124:125], -v[185:186]
	v_fma_f64 v[167:168], v[167:168], v[124:125], v[126:127]
	ds_load_b128 v[124:127], v141 offset:960
	ds_load_b128 v[185:188], v141 offset:1280
	v_fma_f64 v[181:182], v[181:182], v[128:129], -v[189:190]
	v_fma_f64 v[183:184], v[183:184], v[128:129], v[130:131]
	s_wait_loadcnt_dscnt 0x801
	v_mul_f64_e32 v[192:193], v[126:127], v[134:135]
	v_mul_f64_e32 v[128:129], v[124:125], v[134:135]
	s_wait_loadcnt_dscnt 0x700
	v_mul_f64_e32 v[189:190], v[187:188], v[151:152]
	v_mul_f64_e32 v[151:152], v[185:186], v[151:152]
	s_delay_alu instid0(VALU_DEP_4) | instskip(NEXT) | instid1(VALU_DEP_4)
	v_fma_f64 v[124:125], v[124:125], v[132:133], -v[192:193]
	v_fma_f64 v[126:127], v[126:127], v[132:133], v[128:129]
	ds_load_b128 v[128:131], v141 offset:1600
	ds_load_b128 v[132:135], v141 offset:1920
	v_fma_f64 v[185:186], v[185:186], v[149:150], -v[189:190]
	v_fma_f64 v[187:188], v[187:188], v[149:150], v[151:152]
	;; [unrolled: 13-line block ×4, first 2 shown]
	s_wait_loadcnt_dscnt 0x201
	v_mul_f64_e32 v[192:193], v[159:160], v[175:176]
	v_mul_f64_e32 v[169:170], v[157:158], v[175:176]
	s_wait_loadcnt_dscnt 0x100
	v_mul_f64_e32 v[189:190], v[163:164], v[138:139]
	v_mul_f64_e32 v[138:139], v[161:162], v[138:139]
	s_delay_alu instid0(VALU_DEP_4) | instskip(NEXT) | instid1(VALU_DEP_4)
	v_fma_f64 v[157:158], v[157:158], v[173:174], -v[192:193]
	v_fma_f64 v[159:160], v[159:160], v[173:174], v[169:170]
	ds_load_b128 v[173:176], v141 offset:3520
	global_load_b128 v[169:172], v140, s[0:1] offset:3840
	v_fma_f64 v[161:162], v[161:162], v[136:137], -v[189:190]
	v_fma_f64 v[163:164], v[163:164], v[136:137], v[138:139]
	ds_load_b128 v[136:139], v141 offset:3840
	s_wait_loadcnt_dscnt 0x101
	v_mul_f64_e32 v[189:190], v[175:176], v[179:180]
	v_mul_f64_e32 v[179:180], v[173:174], v[179:180]
	s_delay_alu instid0(VALU_DEP_2) | instskip(NEXT) | instid1(VALU_DEP_2)
	v_fma_f64 v[173:174], v[173:174], v[177:178], -v[189:190]
	v_fma_f64 v[175:176], v[175:176], v[177:178], v[179:180]
	global_load_b128 v[177:180], v140, s[0:1] offset:4160
	s_wait_loadcnt_dscnt 0x100
	v_mul_f64_e32 v[189:190], v[138:139], v[171:172]
	v_mul_f64_e32 v[171:172], v[136:137], v[171:172]
	s_delay_alu instid0(VALU_DEP_2) | instskip(NEXT) | instid1(VALU_DEP_2)
	v_fma_f64 v[136:137], v[136:137], v[169:170], -v[189:190]
	v_fma_f64 v[138:139], v[138:139], v[169:170], v[171:172]
	ds_load_b128 v[169:172], v141 offset:4160
	ds_load_b128 v[192:195], v141 offset:4480
	s_wait_loadcnt_dscnt 0x1
	v_mul_f64_e32 v[189:190], v[171:172], v[179:180]
	v_mul_f64_e32 v[179:180], v[169:170], v[179:180]
	s_delay_alu instid0(VALU_DEP_2) | instskip(NEXT) | instid1(VALU_DEP_2)
	v_fma_f64 v[169:170], v[169:170], v[177:178], -v[189:190]
	v_fma_f64 v[171:172], v[171:172], v[177:178], v[179:180]
	s_clause 0x1
	global_load_b128 v[177:180], v140, s[0:1] offset:4480
	global_load_b128 v[196:199], v140, s[0:1] offset:4800
	s_wait_loadcnt_dscnt 0x100
	v_mul_f64_e32 v[189:190], v[194:195], v[179:180]
	v_mul_f64_e32 v[179:180], v[192:193], v[179:180]
	s_delay_alu instid0(VALU_DEP_2) | instskip(NEXT) | instid1(VALU_DEP_2)
	v_fma_f64 v[192:193], v[192:193], v[177:178], -v[189:190]
	v_fma_f64 v[194:195], v[194:195], v[177:178], v[179:180]
	ds_load_b128 v[177:180], v141 offset:4800
	ds_load_b128 v[200:203], v141 offset:5120
	s_wait_loadcnt_dscnt 0x1
	v_mul_f64_e32 v[189:190], v[179:180], v[198:199]
	v_mul_f64_e32 v[198:199], v[177:178], v[198:199]
	s_delay_alu instid0(VALU_DEP_2) | instskip(NEXT) | instid1(VALU_DEP_2)
	v_fma_f64 v[177:178], v[177:178], v[196:197], -v[189:190]
	v_fma_f64 v[179:180], v[179:180], v[196:197], v[198:199]
	global_load_b128 v[196:199], v140, s[0:1] offset:5120
	s_wait_loadcnt_dscnt 0x0
	v_mul_f64_e32 v[189:190], v[202:203], v[198:199]
	v_mul_f64_e32 v[204:205], v[200:201], v[198:199]
	s_delay_alu instid0(VALU_DEP_2) | instskip(NEXT) | instid1(VALU_DEP_2)
	v_fma_f64 v[198:199], v[200:201], v[196:197], -v[189:190]
	v_fma_f64 v[200:201], v[202:203], v[196:197], v[204:205]
	ds_store_b128 v141, v[165:168] offset:320
	ds_store_b128 v141, v[181:184] offset:640
	ds_store_b128 v141, v[124:127] offset:960
	ds_store_b128 v141, v[185:188] offset:1280
	ds_store_b128 v141, v[128:131] offset:1600
	ds_store_b128 v141, v[132:135] offset:1920
	ds_store_b128 v141, v[149:152] offset:2240
	ds_store_b128 v141, v[153:156] offset:2560
	ds_store_b128 v141, v[157:160] offset:2880
	ds_store_b128 v141, v[161:164] offset:3200
	ds_store_b128 v141, v[173:176] offset:3520
	ds_store_b128 v141, v[136:139] offset:3840
	ds_store_b128 v141, v[169:172] offset:4160
	ds_store_b128 v141, v[192:195] offset:4480
	ds_store_b128 v141, v[177:180] offset:4800
	ds_store_b128 v141, v[198:201] offset:5120
.LBB0_9:
	s_wait_alu 0xfffe
	s_or_b32 exec_lo, exec_lo, s2
	global_wb scope:SCOPE_SE
	s_wait_dscnt 0x0
	s_barrier_signal -1
	s_barrier_wait -1
	global_inv scope:SCOPE_SE
	s_and_saveexec_b32 s0, vcc_lo
	s_cbranch_execz .LBB0_11
; %bb.10:
	ds_load_b128 v[84:87], v143
	ds_load_b128 v[88:91], v143 offset:320
	ds_load_b128 v[92:95], v143 offset:640
	;; [unrolled: 1-line block ×16, first 2 shown]
.LBB0_11:
	s_wait_alu 0xfffe
	s_or_b32 exec_lo, exec_lo, s0
	global_wb scope:SCOPE_SE
	s_wait_dscnt 0x0
	s_barrier_signal -1
	s_barrier_wait -1
	global_inv scope:SCOPE_SE
	s_and_saveexec_b32 s33, vcc_lo
	s_cbranch_execz .LBB0_13
; %bb.12:
	v_add_f64_e32 v[126:127], v[84:85], v[88:89]
	v_add_f64_e32 v[124:125], v[86:87], v[90:91]
	v_add_f64_e64 v[134:135], v[92:93], -v[4:5]
	s_mov_b32 s24, 0x6c9a05f6
	s_mov_b32 s25, 0xbfe9895b
	;; [unrolled: 1-line block ×11, first 2 shown]
	s_wait_alu 0xfffe
	s_mov_b32 s42, s26
	s_mov_b32 s16, 0x3259b75e
	s_mov_b32 s17, 0x3fb79ee6
	s_mov_b32 s44, 0x7c9e640b
	s_mov_b32 s45, 0x3feca52d
	s_mov_b32 s37, 0xbfeca52d
	s_wait_alu 0xfffe
	s_mov_b32 s36, s44
	s_mov_b32 s18, 0x2b2883cd
	s_mov_b32 s19, 0x3fdc86fa
	s_mov_b32 s34, 0x2a9d6da3
	s_mov_b32 s35, 0x3fe58eea
	s_mov_b32 s49, 0xbfe58eea
	s_wait_alu 0xfffe
	s_mov_b32 s48, s34
	s_mov_b32 s20, 0x75d4884
	s_mov_b32 s21, 0x3fe7a5f6
	s_mov_b32 s30, 0xacd6c6b4
	s_mov_b32 s40, 0x5d8e7cdc
	s_mov_b32 s31, 0xbfc7851a
	s_mov_b32 s41, 0x3fd71e95
	s_mov_b32 s29, 0xbfd71e95
	s_wait_alu 0xfffe
	s_mov_b32 s28, s40
	s_mov_b32 s2, 0x910ea3b9
	;; [unrolled: 1-line block ×4, first 2 shown]
	v_add_f64_e32 v[126:127], v[126:127], v[92:93]
	v_add_f64_e32 v[124:125], v[124:125], v[94:95]
	;; [unrolled: 1-line block ×3, first 2 shown]
	s_mov_b32 s3, 0xbfeb34fa
	s_mov_b32 s1, 0xbfef7484
	;; [unrolled: 1-line block ×7, first 2 shown]
	v_mul_f64_e32 v[252:253], s[42:43], v[134:135]
	v_dual_mov_b32 v201, v83 :: v_dual_mov_b32 v200, v82
	v_dual_mov_b32 v199, v81 :: v_dual_mov_b32 v198, v80
	;; [unrolled: 1-line block ×4, first 2 shown]
	v_add_f64_e32 v[126:127], v[126:127], v[96:97]
	v_add_f64_e32 v[124:125], v[124:125], v[98:99]
	s_delay_alu instid0(VALU_DEP_2) | instskip(NEXT) | instid1(VALU_DEP_2)
	v_add_f64_e32 v[126:127], v[126:127], v[100:101]
	v_add_f64_e32 v[124:125], v[124:125], v[102:103]
	s_delay_alu instid0(VALU_DEP_2) | instskip(NEXT) | instid1(VALU_DEP_2)
	;; [unrolled: 3-line block ×5, first 2 shown]
	v_add_f64_e32 v[130:131], v[126:127], v[120:121]
	v_add_f64_e32 v[128:129], v[124:125], v[122:123]
	v_add_f64_e64 v[126:127], v[120:121], -v[116:117]
	v_add_f64_e32 v[124:125], v[122:123], v[118:119]
	v_add_f64_e32 v[120:121], v[120:121], v[116:117]
	v_add_f64_e64 v[122:123], v[122:123], -v[118:119]
	;; [unrolled: 3-line block ×4, first 2 shown]
	v_mul_f64_e32 v[216:217], s[26:27], v[126:127]
	v_mul_f64_e32 v[250:251], s[30:31], v[122:123]
	;; [unrolled: 1-line block ×4, first 2 shown]
	v_add_f64_e32 v[130:131], v[130:131], v[24:25]
	v_add_f64_e32 v[132:133], v[128:129], v[26:27]
	v_add_f64_e64 v[128:129], v[108:109], -v[20:21]
	v_add_f64_e32 v[26:27], v[110:111], v[22:23]
	v_add_f64_e32 v[24:25], v[108:109], v[20:21]
	v_add_f64_e64 v[108:109], v[110:111], -v[22:23]
	v_add_f64_e64 v[110:111], v[104:105], -v[16:17]
	v_mul_f64_e32 v[52:53], s[42:43], v[114:115]
	s_wait_alu 0xfffe
	v_mul_f64_e32 v[238:239], s[50:51], v[114:115]
	v_add_f64_e32 v[130:131], v[130:131], v[20:21]
	v_add_f64_e32 v[132:133], v[132:133], v[22:23]
	;; [unrolled: 1-line block ×4, first 2 shown]
	v_add_f64_e64 v[104:105], v[106:107], -v[18:19]
	v_add_f64_e64 v[106:107], v[100:101], -v[12:13]
	v_mul_f64_e32 v[48:49], s[28:29], v[108:109]
	v_fma_f64 v[54:55], v[112:113], s[16:17], v[52:53]
	v_add_f64_e32 v[130:131], v[130:131], v[16:17]
	v_add_f64_e32 v[132:133], v[132:133], v[18:19]
	;; [unrolled: 1-line block ×4, first 2 shown]
	v_add_f64_e64 v[102:103], v[102:103], -v[14:15]
	v_add_f64_e32 v[100:101], v[98:99], v[10:11]
	v_add_f64_e64 v[98:99], v[98:99], -v[10:11]
	v_fma_f64 v[50:51], v[24:25], s[22:23], v[48:49]
	v_add_f64_e32 v[12:13], v[130:131], v[12:13]
	v_add_f64_e32 v[14:15], v[132:133], v[14:15]
	v_add_f64_e64 v[130:131], v[96:97], -v[8:9]
	v_add_f64_e32 v[96:97], v[96:97], v[8:9]
	v_add_f64_e64 v[132:133], v[94:95], -v[6:7]
	v_add_f64_e32 v[94:95], v[94:95], v[6:7]
	v_mul_f64_e32 v[202:203], s[24:25], v[98:99]
	v_mul_f64_e32 v[28:29], s[30:31], v[102:103]
	;; [unrolled: 1-line block ×5, first 2 shown]
	v_add_f64_e32 v[8:9], v[12:13], v[8:9]
	v_add_f64_e32 v[10:11], v[14:15], v[10:11]
	;; [unrolled: 1-line block ×4, first 2 shown]
	v_mul_f64_e32 v[204:205], s[24:25], v[130:131]
	v_mul_f64_e32 v[56:57], s[52:53], v[130:131]
	v_fma_f64 v[42:43], v[16:17], s[14:15], v[40:41]
	v_fma_f64 v[62:63], v[96:97], s[14:15], v[60:61]
	v_fma_f64 v[60:61], v[96:97], s[14:15], -v[60:61]
	v_fma_f64 v[66:67], v[16:17], s[22:23], v[64:65]
	v_add_f64_e32 v[4:5], v[8:9], v[4:5]
	v_add_f64_e64 v[8:9], v[88:89], -v[0:1]
	v_add_f64_e32 v[6:7], v[10:11], v[6:7]
	v_add_f64_e64 v[10:11], v[90:91], -v[2:3]
	v_fma_f64 v[58:59], v[100:101], s[14:15], -v[56:57]
	v_fma_f64 v[56:57], v[100:101], s[14:15], v[56:57]
	v_add_f64_e32 v[0:1], v[4:5], v[0:1]
	v_mul_f64_e32 v[88:89], s[24:25], v[8:9]
	v_add_f64_e32 v[2:3], v[6:7], v[2:3]
	v_mul_f64_e32 v[169:170], s[24:25], v[10:11]
	v_mul_f64_e32 v[90:91], s[46:47], v[8:9]
	;; [unrolled: 1-line block ×13, first 2 shown]
	v_fma_f64 v[155:156], v[12:13], s[10:11], v[88:89]
	v_fma_f64 v[88:89], v[12:13], s[10:11], -v[88:89]
	scratch_store_b128 off, v[0:3], off offset:44 ; 16-byte Folded Spill
	v_fma_f64 v[183:184], v[14:15], s[10:11], -v[169:170]
	v_fma_f64 v[169:170], v[14:15], s[10:11], v[169:170]
	v_fma_f64 v[157:158], v[12:13], s[14:15], v[90:91]
	v_fma_f64 v[185:186], v[14:15], s[14:15], -v[171:172]
	v_fma_f64 v[159:160], v[12:13], s[16:17], v[136:137]
	v_fma_f64 v[187:188], v[14:15], s[16:17], -v[173:174]
	v_fma_f64 v[161:162], v[12:13], s[18:19], -v[138:139]
	v_fma_f64 v[138:139], v[12:13], s[18:19], v[138:139]
	v_fma_f64 v[189:190], v[14:15], s[18:19], v[175:176]
	v_fma_f64 v[175:176], v[14:15], s[18:19], -v[175:176]
	v_fma_f64 v[163:164], v[12:13], s[20:21], -v[149:150]
	v_fma_f64 v[149:150], v[12:13], s[20:21], v[149:150]
	v_fma_f64 v[192:193], v[14:15], s[20:21], v[177:178]
	v_fma_f64 v[177:178], v[14:15], s[20:21], -v[177:178]
	v_fma_f64 v[151:152], v[12:13], s[0:1], v[4:5]
	v_fma_f64 v[4:5], v[12:13], s[0:1], -v[4:5]
	;; [unrolled: 2-line block ×3, first 2 shown]
	v_fma_f64 v[90:91], v[12:13], s[14:15], -v[90:91]
	v_fma_f64 v[136:137], v[12:13], s[16:17], -v[136:137]
	;; [unrolled: 1-line block ×3, first 2 shown]
	v_fma_f64 v[8:9], v[12:13], s[22:23], v[8:9]
	v_mul_f64_e32 v[12:13], s[30:31], v[10:11]
	v_mul_f64_e32 v[10:11], s[28:29], v[10:11]
	v_fma_f64 v[181:182], v[14:15], s[2:3], -v[167:168]
	v_fma_f64 v[167:168], v[14:15], s[2:3], v[167:168]
	v_fma_f64 v[171:172], v[14:15], s[14:15], v[171:172]
	;; [unrolled: 1-line block ×3, first 2 shown]
	v_add_f64_e32 v[155:156], v[86:87], v[155:156]
	v_add_f64_e32 v[0:1], v[86:87], v[88:89]
	;; [unrolled: 1-line block ×5, first 2 shown]
	v_mov_b32_e32 v190, v255
	v_mul_f64_e32 v[254:255], s[30:31], v[106:107]
	v_mov_b32_e32 v189, v191
	v_add_f64_e32 v[153:154], v[86:87], v[153:154]
	v_add_f64_e32 v[196:197], v[86:87], v[6:7]
	v_fma_f64 v[179:180], v[14:15], s[0:1], -v[12:13]
	v_fma_f64 v[12:13], v[14:15], s[0:1], v[12:13]
	v_fma_f64 v[194:195], v[14:15], s[22:23], v[10:11]
	v_fma_f64 v[10:11], v[14:15], s[22:23], -v[10:11]
	v_add_f64_e32 v[14:15], v[86:87], v[151:152]
	v_add_f64_e32 v[181:182], v[84:85], v[181:182]
	;; [unrolled: 1-line block ×4, first 2 shown]
	scratch_store_b64 off, v[0:1], off offset:228 ; 8-byte Folded Spill
	v_add_f64_e32 v[0:1], v[84:85], v[169:170]
	v_add_f64_e32 v[169:170], v[86:87], v[90:91]
	v_add_f64_e32 v[90:91], v[84:85], v[173:174]
	v_mul_f64_e32 v[173:174], s[42:43], v[132:133]
	v_add_f64_e32 v[151:152], v[84:85], v[179:180]
	v_add_f64_e32 v[179:180], v[86:87], v[4:5]
	;; [unrolled: 1-line block ×3, first 2 shown]
	scratch_store_b64 off, v[0:1], off offset:220 ; 8-byte Folded Spill
	v_add_f64_e32 v[0:1], v[86:87], v[157:158]
	v_add_f64_e32 v[157:158], v[86:87], v[163:164]
	v_add_f64_e32 v[163:164], v[84:85], v[194:195]
	scratch_store_b64 off, v[0:1], off offset:196 ; 8-byte Folded Spill
	v_add_f64_e32 v[0:1], v[84:85], v[185:186]
	scratch_store_b64 off, v[0:1], off offset:188 ; 8-byte Folded Spill
	v_add_f64_e32 v[0:1], v[86:87], v[159:160]
	v_add_f64_e32 v[159:160], v[86:87], v[165:166]
	;; [unrolled: 1-line block ×3, first 2 shown]
	v_mov_b32_e32 v193, v234
	v_mul_f64_e32 v[191:192], s[50:51], v[118:119]
	scratch_store_b64 off, v[0:1], off offset:164 ; 8-byte Folded Spill
	v_add_f64_e32 v[0:1], v[84:85], v[187:188]
	s_clause 0x1
	scratch_store_b64 off, v[0:1], off offset:156
	scratch_store_b128 off, v[206:209], off offset:20
	v_add_f64_e32 v[0:1], v[86:87], v[138:139]
	v_add_f64_e32 v[206:207], v[86:87], v[136:137]
	v_dual_mov_b32 v185, v218 :: v_dual_mov_b32 v186, v219
	v_dual_mov_b32 v187, v220 :: v_dual_mov_b32 v188, v221
	v_mul_f64_e32 v[218:219], s[26:27], v[122:123]
	v_mul_f64_e32 v[220:221], s[44:45], v[126:127]
	s_clause 0x1
	scratch_store_b32 off, v148, off offset:36
	scratch_store_b64 off, v[0:1], off offset:148
	v_add_f64_e32 v[0:1], v[84:85], v[175:176]
	v_mul_f64_e32 v[175:176], s[38:39], v[128:129]
	scratch_store_b64 off, v[0:1], off offset:140 ; 8-byte Folded Spill
	v_add_f64_e32 v[0:1], v[86:87], v[149:150]
	scratch_store_b64 off, v[0:1], off offset:116 ; 8-byte Folded Spill
	v_add_f64_e32 v[0:1], v[84:85], v[177:178]
	;; [unrolled: 2-line block ×3, first 2 shown]
	v_mul_f64_e32 v[8:9], s[40:41], v[134:135]
	scratch_store_b64 off, v[0:1], off offset:100 ; 8-byte Folded Spill
	v_fma_f64 v[4:5], v[94:95], s[22:23], v[8:9]
	v_add_f64_e32 v[0:1], v[84:85], v[10:11]
	v_mul_f64_e32 v[10:11], s[40:41], v[132:133]
	v_fma_f64 v[8:9], v[94:95], s[22:23], -v[8:9]
	s_delay_alu instid0(VALU_DEP_4) | instskip(SKIP_1) | instid1(VALU_DEP_4)
	v_add_f64_e32 v[4:5], v[4:5], v[14:15]
	v_mul_f64_e32 v[14:15], s[38:39], v[130:131]
	v_fma_f64 v[6:7], v[92:93], s[22:23], -v[10:11]
	v_fma_f64 v[10:11], v[92:93], s[22:23], v[10:11]
	v_add_f64_e32 v[8:9], v[8:9], v[179:180]
	scratch_store_b64 off, v[0:1], off offset:92 ; 8-byte Folded Spill
	v_fma_f64 v[136:137], v[100:101], s[2:3], v[14:15]
	v_add_f64_e32 v[6:7], v[6:7], v[151:152]
	v_add_f64_e32 v[10:11], v[10:11], v[12:13]
	v_fma_f64 v[12:13], v[100:101], s[2:3], -v[14:15]
	v_fma_f64 v[14:15], v[120:121], s[16:17], v[218:219]
	v_add_f64_e32 v[4:5], v[136:137], v[4:5]
	v_mul_f64_e32 v[136:137], s[38:39], v[98:99]
	s_delay_alu instid0(VALU_DEP_4) | instskip(NEXT) | instid1(VALU_DEP_2)
	v_add_f64_e32 v[8:9], v[12:13], v[8:9]
	v_fma_f64 v[138:139], v[96:97], s[2:3], -v[136:137]
	v_fma_f64 v[12:13], v[96:97], s[2:3], v[136:137]
	v_mul_f64_e32 v[136:137], s[44:45], v[134:135]
	s_delay_alu instid0(VALU_DEP_3) | instskip(SKIP_1) | instid1(VALU_DEP_4)
	v_add_f64_e32 v[6:7], v[138:139], v[6:7]
	v_mul_f64_e32 v[138:139], s[34:35], v[106:107]
	v_add_f64_e32 v[10:11], v[12:13], v[10:11]
	s_delay_alu instid0(VALU_DEP_2) | instskip(SKIP_2) | instid1(VALU_DEP_3)
	v_fma_f64 v[149:150], v[18:19], s[20:21], v[138:139]
	v_fma_f64 v[12:13], v[18:19], s[20:21], -v[138:139]
	v_mul_f64_e32 v[138:139], s[44:45], v[132:133]
	v_add_f64_e32 v[4:5], v[149:150], v[4:5]
	v_mul_f64_e32 v[149:150], s[34:35], v[102:103]
	s_delay_alu instid0(VALU_DEP_4) | instskip(NEXT) | instid1(VALU_DEP_2)
	v_add_f64_e32 v[8:9], v[12:13], v[8:9]
	v_fma_f64 v[151:152], v[16:17], s[20:21], -v[149:150]
	v_fma_f64 v[12:13], v[16:17], s[20:21], v[149:150]
	v_mul_f64_e32 v[149:150], s[42:43], v[130:131]
	s_delay_alu instid0(VALU_DEP_3) | instskip(SKIP_1) | instid1(VALU_DEP_4)
	v_add_f64_e32 v[6:7], v[151:152], v[6:7]
	v_mul_f64_e32 v[151:152], s[24:25], v[110:111]
	v_add_f64_e32 v[10:11], v[12:13], v[10:11]
	s_delay_alu instid0(VALU_DEP_2) | instskip(SKIP_3) | instid1(VALU_DEP_4)
	v_fma_f64 v[177:178], v[22:23], s[10:11], v[151:152]
	v_fma_f64 v[12:13], v[22:23], s[10:11], -v[151:152]
	v_fma_f64 v[151:152], v[100:101], s[16:17], v[149:150]
	v_fma_f64 v[149:150], v[100:101], s[16:17], -v[149:150]
	v_add_f64_e32 v[4:5], v[177:178], v[4:5]
	v_mul_f64_e32 v[177:178], s[24:25], v[104:105]
	v_add_f64_e32 v[8:9], v[12:13], v[8:9]
	s_delay_alu instid0(VALU_DEP_2) | instskip(SKIP_1) | instid1(VALU_DEP_2)
	v_fma_f64 v[194:195], v[20:21], s[10:11], -v[177:178]
	v_fma_f64 v[12:13], v[20:21], s[10:11], v[177:178]
	v_add_f64_e32 v[6:7], v[194:195], v[6:7]
	v_mul_f64_e32 v[194:195], s[44:45], v[128:129]
	s_delay_alu instid0(VALU_DEP_3) | instskip(NEXT) | instid1(VALU_DEP_2)
	v_add_f64_e32 v[10:11], v[12:13], v[10:11]
	v_fma_f64 v[208:209], v[26:27], s[18:19], v[194:195]
	v_fma_f64 v[12:13], v[26:27], s[18:19], -v[194:195]
	s_delay_alu instid0(VALU_DEP_2) | instskip(SKIP_1) | instid1(VALU_DEP_3)
	v_add_f64_e32 v[4:5], v[208:209], v[4:5]
	v_mul_f64_e32 v[208:209], s[44:45], v[108:109]
	v_add_f64_e32 v[8:9], v[12:13], v[8:9]
	s_delay_alu instid0(VALU_DEP_2) | instskip(SKIP_1) | instid1(VALU_DEP_2)
	v_fma_f64 v[210:211], v[24:25], s[18:19], -v[208:209]
	v_fma_f64 v[12:13], v[24:25], s[18:19], v[208:209]
	v_add_f64_e32 v[6:7], v[210:211], v[6:7]
	v_mul_f64_e32 v[210:211], s[46:47], v[118:119]
	s_delay_alu instid0(VALU_DEP_3) | instskip(NEXT) | instid1(VALU_DEP_2)
	v_add_f64_e32 v[10:11], v[12:13], v[10:11]
	v_fma_f64 v[212:213], v[116:117], s[14:15], v[210:211]
	v_fma_f64 v[12:13], v[116:117], s[14:15], -v[210:211]
	s_delay_alu instid0(VALU_DEP_2) | instskip(SKIP_1) | instid1(VALU_DEP_3)
	v_add_f64_e32 v[4:5], v[212:213], v[4:5]
	v_mul_f64_e32 v[212:213], s[46:47], v[114:115]
	v_add_f64_e32 v[8:9], v[12:13], v[8:9]
	s_delay_alu instid0(VALU_DEP_2) | instskip(SKIP_1) | instid1(VALU_DEP_2)
	v_fma_f64 v[214:215], v[112:113], s[14:15], -v[212:213]
	v_fma_f64 v[12:13], v[112:113], s[14:15], v[212:213]
	v_add_f64_e32 v[214:215], v[214:215], v[6:7]
	v_fma_f64 v[6:7], v[124:125], s[16:17], v[216:217]
	s_delay_alu instid0(VALU_DEP_3) | instskip(SKIP_2) | instid1(VALU_DEP_4)
	v_add_f64_e32 v[12:13], v[12:13], v[10:11]
	v_fma_f64 v[10:11], v[124:125], s[16:17], -v[216:217]
	v_mul_f64_e32 v[216:217], s[46:47], v[126:127]
	v_add_f64_e32 v[2:3], v[6:7], v[4:5]
	v_fma_f64 v[4:5], v[120:121], s[16:17], -v[218:219]
	v_mul_f64_e32 v[218:219], s[46:47], v[122:123]
	s_delay_alu instid0(VALU_DEP_2)
	v_add_f64_e32 v[0:1], v[4:5], v[214:215]
	v_dual_mov_b32 v4, v236 :: v_dual_mov_b32 v5, v237
	v_mul_f64_e32 v[236:237], s[38:39], v[108:109]
	scratch_store_b128 off, v[0:3], off offset:60 ; 16-byte Folded Spill
	v_add_f64_e32 v[0:1], v[14:15], v[12:13]
	v_fma_f64 v[12:13], v[94:95], s[18:19], v[136:137]
	v_fma_f64 v[14:15], v[92:93], s[18:19], -v[138:139]
	v_fma_f64 v[136:137], v[94:95], s[18:19], -v[136:137]
	v_fma_f64 v[138:139], v[92:93], s[18:19], v[138:139]
	v_add_f64_e32 v[2:3], v[10:11], v[8:9]
	v_mul_f64_e32 v[8:9], s[28:29], v[98:99]
	v_add_f64_e32 v[12:13], v[12:13], v[153:154]
	v_add_f64_e32 v[14:15], v[14:15], v[181:182]
	;; [unrolled: 1-line block ×4, first 2 shown]
	scratch_store_b128 off, v[0:3], off offset:76 ; 16-byte Folded Spill
	v_mul_f64_e32 v[196:197], s[38:39], v[102:103]
	v_add_f64_e32 v[12:13], v[151:152], v[12:13]
	v_mul_f64_e32 v[151:152], s[42:43], v[98:99]
	v_add_f64_e32 v[136:137], v[149:150], v[136:137]
	s_delay_alu instid0(VALU_DEP_2) | instskip(SKIP_2) | instid1(VALU_DEP_3)
	v_fma_f64 v[153:154], v[96:97], s[16:17], -v[151:152]
	v_fma_f64 v[149:150], v[96:97], s[16:17], v[151:152]
	v_fma_f64 v[151:152], v[120:121], s[14:15], v[218:219]
	v_add_f64_e32 v[14:15], v[153:154], v[14:15]
	v_mul_f64_e32 v[153:154], s[50:51], v[106:107]
	s_delay_alu instid0(VALU_DEP_4) | instskip(NEXT) | instid1(VALU_DEP_2)
	v_add_f64_e32 v[138:139], v[149:150], v[138:139]
	v_fma_f64 v[177:178], v[18:19], s[10:11], v[153:154]
	v_fma_f64 v[149:150], v[18:19], s[10:11], -v[153:154]
	s_delay_alu instid0(VALU_DEP_2) | instskip(SKIP_1) | instid1(VALU_DEP_3)
	v_add_f64_e32 v[12:13], v[177:178], v[12:13]
	v_mul_f64_e32 v[177:178], s[50:51], v[102:103]
	v_add_f64_e32 v[136:137], v[149:150], v[136:137]
	s_delay_alu instid0(VALU_DEP_2) | instskip(SKIP_2) | instid1(VALU_DEP_3)
	v_fma_f64 v[179:180], v[16:17], s[10:11], -v[177:178]
	v_fma_f64 v[149:150], v[16:17], s[10:11], v[177:178]
	v_mul_f64_e32 v[177:178], s[52:53], v[134:135]
	v_add_f64_e32 v[14:15], v[179:180], v[14:15]
	v_mul_f64_e32 v[179:180], s[28:29], v[110:111]
	s_delay_alu instid0(VALU_DEP_4) | instskip(NEXT) | instid1(VALU_DEP_2)
	v_add_f64_e32 v[138:139], v[149:150], v[138:139]
	v_fma_f64 v[181:182], v[22:23], s[22:23], v[179:180]
	v_fma_f64 v[149:150], v[22:23], s[22:23], -v[179:180]
	v_mul_f64_e32 v[179:180], s[52:53], v[132:133]
	s_delay_alu instid0(VALU_DEP_3) | instskip(SKIP_1) | instid1(VALU_DEP_4)
	v_add_f64_e32 v[12:13], v[181:182], v[12:13]
	v_mul_f64_e32 v[181:182], s[28:29], v[104:105]
	v_add_f64_e32 v[136:137], v[149:150], v[136:137]
	s_delay_alu instid0(VALU_DEP_2) | instskip(SKIP_1) | instid1(VALU_DEP_2)
	v_fma_f64 v[194:195], v[20:21], s[22:23], -v[181:182]
	v_fma_f64 v[149:150], v[20:21], s[22:23], v[181:182]
	v_add_f64_e32 v[14:15], v[194:195], v[14:15]
	v_mul_f64_e32 v[194:195], s[30:31], v[128:129]
	s_delay_alu instid0(VALU_DEP_3) | instskip(NEXT) | instid1(VALU_DEP_2)
	v_add_f64_e32 v[138:139], v[149:150], v[138:139]
	v_fma_f64 v[208:209], v[26:27], s[0:1], v[194:195]
	v_fma_f64 v[149:150], v[26:27], s[0:1], -v[194:195]
	v_mul_f64_e32 v[194:195], s[38:39], v[106:107]
	s_delay_alu instid0(VALU_DEP_3) | instskip(SKIP_1) | instid1(VALU_DEP_4)
	v_add_f64_e32 v[12:13], v[208:209], v[12:13]
	v_mul_f64_e32 v[208:209], s[30:31], v[108:109]
	v_add_f64_e32 v[136:137], v[149:150], v[136:137]
	s_delay_alu instid0(VALU_DEP_2) | instskip(SKIP_2) | instid1(VALU_DEP_3)
	v_fma_f64 v[210:211], v[24:25], s[0:1], -v[208:209]
	v_fma_f64 v[149:150], v[24:25], s[0:1], v[208:209]
	v_mul_f64_e32 v[208:209], s[26:27], v[110:111]
	v_add_f64_e32 v[14:15], v[210:211], v[14:15]
	v_mul_f64_e32 v[210:211], s[34:35], v[118:119]
	s_delay_alu instid0(VALU_DEP_4) | instskip(NEXT) | instid1(VALU_DEP_2)
	v_add_f64_e32 v[138:139], v[149:150], v[138:139]
	v_fma_f64 v[212:213], v[116:117], s[20:21], v[210:211]
	v_fma_f64 v[149:150], v[116:117], s[20:21], -v[210:211]
	v_mul_f64_e32 v[210:211], s[26:27], v[104:105]
	s_delay_alu instid0(VALU_DEP_3) | instskip(SKIP_1) | instid1(VALU_DEP_4)
	v_add_f64_e32 v[12:13], v[212:213], v[12:13]
	v_mul_f64_e32 v[212:213], s[34:35], v[114:115]
	v_add_f64_e32 v[136:137], v[149:150], v[136:137]
	s_delay_alu instid0(VALU_DEP_2) | instskip(SKIP_2) | instid1(VALU_DEP_3)
	v_fma_f64 v[214:215], v[112:113], s[20:21], -v[212:213]
	v_fma_f64 v[149:150], v[112:113], s[20:21], v[212:213]
	v_mul_f64_e32 v[212:213], s[48:49], v[128:129]
	v_add_f64_e32 v[214:215], v[214:215], v[14:15]
	v_fma_f64 v[14:15], v[124:125], s[14:15], v[216:217]
	s_delay_alu instid0(VALU_DEP_4) | instskip(SKIP_2) | instid1(VALU_DEP_4)
	v_add_f64_e32 v[149:150], v[149:150], v[138:139]
	v_fma_f64 v[138:139], v[124:125], s[14:15], -v[216:217]
	v_mul_f64_e32 v[216:217], s[30:31], v[118:119]
	v_add_f64_e32 v[2:3], v[14:15], v[12:13]
	v_fma_f64 v[12:13], v[120:121], s[14:15], -v[218:219]
	v_mul_f64_e32 v[218:219], s[30:31], v[114:115]
	s_delay_alu instid0(VALU_DEP_2)
	v_add_f64_e32 v[0:1], v[12:13], v[214:215]
	v_mul_f64_e32 v[12:13], s[28:29], v[130:131]
	v_mul_f64_e32 v[214:215], s[48:49], v[108:109]
	scratch_store_b128 off, v[0:3], off offset:124 ; 16-byte Folded Spill
	v_add_f64_e32 v[0:1], v[151:152], v[149:150]
	v_fma_f64 v[149:150], v[94:95], s[14:15], v[177:178]
	v_fma_f64 v[151:152], v[92:93], s[14:15], -v[179:180]
	v_fma_f64 v[153:154], v[100:101], s[22:23], v[12:13]
	v_add_f64_e32 v[2:3], v[138:139], v[136:137]
	v_dual_mov_b32 v136, v222 :: v_dual_mov_b32 v137, v223
	v_dual_mov_b32 v138, v224 :: v_dual_mov_b32 v139, v225
	v_mul_f64_e32 v[222:223], s[44:45], v[122:123]
	v_add_f64_e32 v[149:150], v[149:150], v[155:156]
	v_add_f64_e32 v[151:152], v[151:152], v[183:184]
	v_dual_mov_b32 v184, v75 :: v_dual_mov_b32 v183, v74
	scratch_store_b128 off, v[0:3], off offset:172 ; 16-byte Folded Spill
	v_dual_mov_b32 v182, v73 :: v_dual_mov_b32 v181, v72
	v_mul_f64_e32 v[74:75], s[52:53], v[128:129]
	v_mul_f64_e32 v[72:73], s[26:27], v[108:109]
	v_add_f64_e32 v[149:150], v[153:154], v[149:150]
	v_fma_f64 v[153:154], v[96:97], s[22:23], -v[8:9]
	s_delay_alu instid0(VALU_DEP_4) | instskip(NEXT) | instid1(VALU_DEP_2)
	v_fma_f64 v[14:15], v[26:27], s[14:15], -v[74:75]
	v_add_f64_e32 v[151:152], v[153:154], v[151:152]
	v_fma_f64 v[153:154], v[18:19], s[2:3], v[194:195]
	s_delay_alu instid0(VALU_DEP_1) | instskip(SKIP_1) | instid1(VALU_DEP_1)
	v_add_f64_e32 v[149:150], v[153:154], v[149:150]
	v_fma_f64 v[153:154], v[16:17], s[2:3], -v[196:197]
	v_add_f64_e32 v[151:152], v[153:154], v[151:152]
	v_fma_f64 v[153:154], v[22:23], s[16:17], v[208:209]
	s_delay_alu instid0(VALU_DEP_1) | instskip(SKIP_1) | instid1(VALU_DEP_1)
	v_add_f64_e32 v[149:150], v[153:154], v[149:150]
	;; [unrolled: 5-line block ×4, first 2 shown]
	v_fma_f64 v[153:154], v[112:113], s[0:1], -v[218:219]
	v_add_f64_e32 v[153:154], v[153:154], v[151:152]
	v_fma_f64 v[151:152], v[124:125], s[18:19], v[220:221]
	s_delay_alu instid0(VALU_DEP_1) | instskip(SKIP_4) | instid1(VALU_DEP_4)
	v_add_f64_e32 v[2:3], v[151:152], v[149:150]
	v_fma_f64 v[149:150], v[120:121], s[18:19], -v[222:223]
	v_dual_mov_b32 v152, v143 :: v_dual_mov_b32 v143, v140
	v_mov_b32_e32 v140, v235
	v_mul_f64_e32 v[234:235], s[24:25], v[132:133]
	v_add_f64_e32 v[0:1], v[149:150], v[153:154]
	v_dual_mov_b32 v151, v71 :: v_dual_mov_b32 v150, v70
	v_dual_mov_b32 v149, v69 :: v_dual_mov_b32 v148, v68
	v_mul_f64_e32 v[70:71], s[44:45], v[118:119]
	v_mul_f64_e32 v[68:69], s[36:37], v[104:105]
	scratch_store_b128 off, v[0:3], off offset:204 ; 16-byte Folded Spill
	v_mul_f64_e32 v[0:1], s[48:49], v[134:135]
	v_fma_f64 v[86:87], v[116:117], s[18:19], -v[70:71]
	scratch_store_b64 off, v[0:1], off offset:236 ; 8-byte Folded Spill
	v_fma_f64 v[153:154], v[94:95], s[20:21], -v[0:1]
	v_mul_f64_e32 v[0:1], s[48:49], v[132:133]
	s_delay_alu instid0(VALU_DEP_2) | instskip(SKIP_3) | instid1(VALU_DEP_2)
	v_add_f64_e32 v[153:154], v[153:154], v[159:160]
	scratch_store_b64 off, v[0:1], off offset:244 ; 8-byte Folded Spill
	v_fma_f64 v[155:156], v[92:93], s[20:21], v[0:1]
	v_mul_f64_e32 v[0:1], s[36:37], v[130:131]
	v_add_f64_e32 v[155:156], v[155:156], v[163:164]
	scratch_store_b64 off, v[0:1], off offset:252 ; 8-byte Folded Spill
	v_fma_f64 v[159:160], v[100:101], s[18:19], -v[0:1]
	v_mul_f64_e32 v[0:1], s[36:37], v[98:99]
	v_fma_f64 v[163:164], v[100:101], s[10:11], -v[204:205]
	s_delay_alu instid0(VALU_DEP_3) | instskip(SKIP_3) | instid1(VALU_DEP_2)
	v_add_f64_e32 v[153:154], v[159:160], v[153:154]
	scratch_store_b64 off, v[0:1], off offset:260 ; 8-byte Folded Spill
	v_fma_f64 v[159:160], v[96:97], s[18:19], v[0:1]
	v_mul_f64_e32 v[0:1], s[42:43], v[106:107]
	v_add_f64_e32 v[155:156], v[159:160], v[155:156]
	scratch_store_b64 off, v[0:1], off offset:268 ; 8-byte Folded Spill
	v_fma_f64 v[159:160], v[18:19], s[16:17], -v[0:1]
	v_mul_f64_e32 v[0:1], s[42:43], v[102:103]
	s_delay_alu instid0(VALU_DEP_2) | instskip(SKIP_3) | instid1(VALU_DEP_2)
	v_add_f64_e32 v[153:154], v[159:160], v[153:154]
	scratch_store_b64 off, v[0:1], off offset:276 ; 8-byte Folded Spill
	v_fma_f64 v[159:160], v[16:17], s[16:17], v[0:1]
	v_mul_f64_e32 v[0:1], s[46:47], v[110:111]
	v_add_f64_e32 v[155:156], v[159:160], v[155:156]
	scratch_store_b64 off, v[0:1], off offset:284 ; 8-byte Folded Spill
	v_fma_f64 v[159:160], v[22:23], s[14:15], -v[0:1]
	v_mul_f64_e32 v[0:1], s[46:47], v[104:105]
	s_mov_b32 s47, 0x3fe0d888
	s_mov_b32 s46, s38
	s_wait_alu 0xfffe
	v_mul_f64_e32 v[224:225], s[46:47], v[110:111]
	v_mul_f64_e32 v[84:85], s[46:47], v[104:105]
	s_delay_alu instid0(VALU_DEP_4)
	v_add_f64_e32 v[153:154], v[159:160], v[153:154]
	scratch_store_b64 off, v[0:1], off offset:292 ; 8-byte Folded Spill
	v_fma_f64 v[159:160], v[20:21], s[14:15], v[0:1]
	v_mul_f64_e32 v[0:1], s[24:25], v[128:129]
	v_fma_f64 v[6:7], v[22:23], s[2:3], -v[224:225]
	v_fma_f64 v[10:11], v[20:21], s[2:3], v[84:85]
	s_delay_alu instid0(VALU_DEP_4) | instskip(SKIP_3) | instid1(VALU_DEP_2)
	v_add_f64_e32 v[155:156], v[159:160], v[155:156]
	scratch_store_b64 off, v[0:1], off offset:300 ; 8-byte Folded Spill
	v_fma_f64 v[159:160], v[26:27], s[10:11], -v[0:1]
	v_mul_f64_e32 v[0:1], s[24:25], v[108:109]
	v_add_f64_e32 v[153:154], v[159:160], v[153:154]
	scratch_store_b64 off, v[0:1], off offset:308 ; 8-byte Folded Spill
	v_fma_f64 v[159:160], v[24:25], s[10:11], v[0:1]
	v_mul_f64_e32 v[0:1], s[38:39], v[118:119]
	s_delay_alu instid0(VALU_DEP_2) | instskip(SKIP_3) | instid1(VALU_DEP_2)
	v_add_f64_e32 v[155:156], v[159:160], v[155:156]
	scratch_store_b64 off, v[0:1], off offset:316 ; 8-byte Folded Spill
	v_fma_f64 v[159:160], v[116:117], s[2:3], -v[0:1]
	v_mul_f64_e32 v[0:1], s[38:39], v[114:115]
	v_add_f64_e32 v[153:154], v[159:160], v[153:154]
	scratch_store_b64 off, v[0:1], off offset:324 ; 8-byte Folded Spill
	v_fma_f64 v[159:160], v[112:113], s[2:3], v[0:1]
	v_mul_f64_e32 v[0:1], s[30:31], v[126:127]
	s_delay_alu instid0(VALU_DEP_2) | instskip(NEXT) | instid1(VALU_DEP_2)
	v_add_f64_e32 v[159:160], v[159:160], v[155:156]
	v_fma_f64 v[155:156], v[124:125], s[0:1], -v[0:1]
	scratch_store_b64 off, v[0:1], off offset:332 ; 8-byte Folded Spill
	v_dual_mov_b32 v0, v76 :: v_dual_mov_b32 v3, v79
	v_dual_mov_b32 v1, v77 :: v_dual_mov_b32 v2, v78
	;; [unrolled: 1-line block ×4, first 2 shown]
	v_mul_f64_e32 v[44:45], s[34:35], v[104:105]
	v_add_f64_e32 v[155:156], v[155:156], v[153:154]
	v_fma_f64 v[153:154], v[120:121], s[0:1], v[250:251]
	s_delay_alu instid0(VALU_DEP_3) | instskip(NEXT) | instid1(VALU_DEP_2)
	v_fma_f64 v[46:47], v[20:21], s[20:21], v[44:45]
	v_add_f64_e32 v[153:154], v[153:154], v[159:160]
	v_fma_f64 v[159:160], v[94:95], s[16:17], -v[252:253]
	s_delay_alu instid0(VALU_DEP_1) | instskip(SKIP_1) | instid1(VALU_DEP_2)
	v_add_f64_e32 v[157:158], v[159:160], v[157:158]
	v_fma_f64 v[159:160], v[92:93], s[16:17], v[173:174]
	v_add_f64_e32 v[157:158], v[163:164], v[157:158]
	s_delay_alu instid0(VALU_DEP_2) | instskip(SKIP_1) | instid1(VALU_DEP_1)
	v_add_f64_e32 v[159:160], v[159:160], v[165:166]
	v_fma_f64 v[163:164], v[96:97], s[10:11], v[202:203]
	v_add_f64_e32 v[159:160], v[163:164], v[159:160]
	v_fma_f64 v[163:164], v[18:19], s[0:1], -v[254:255]
	s_delay_alu instid0(VALU_DEP_1) | instskip(SKIP_2) | instid1(VALU_DEP_3)
	v_add_f64_e32 v[157:158], v[163:164], v[157:158]
	v_fma_f64 v[163:164], v[16:17], s[0:1], v[28:29]
	v_fma_f64 v[28:29], v[16:17], s[0:1], -v[28:29]
	v_add_f64_e32 v[6:7], v[6:7], v[157:158]
	s_delay_alu instid0(VALU_DEP_3) | instskip(NEXT) | instid1(VALU_DEP_2)
	v_add_f64_e32 v[159:160], v[163:164], v[159:160]
	v_add_f64_e32 v[6:7], v[14:15], v[6:7]
	v_mul_f64_e32 v[14:15], s[52:53], v[108:109]
	s_delay_alu instid0(VALU_DEP_3)
	v_add_f64_e32 v[10:11], v[10:11], v[159:160]
	scratch_load_b64 v[108:109], off, off offset:228 th:TH_LOAD_LU ; 8-byte Folded Reload
	v_add_f64_e32 v[6:7], v[86:87], v[6:7]
	v_fma_f64 v[157:158], v[24:25], s[14:15], v[14:15]
	v_mul_f64_e32 v[86:87], s[44:45], v[114:115]
	s_mov_b32 s45, 0x3fc7851a
	s_mov_b32 s44, s30
	v_mul_f64_e32 v[114:115], s[28:29], v[114:115]
	s_wait_alu 0xfffe
	v_mul_f64_e32 v[36:37], s[44:45], v[98:99]
	v_mul_f64_e32 v[32:33], s[44:45], v[130:131]
	;; [unrolled: 1-line block ×4, first 2 shown]
	v_fma_f64 v[14:15], v[24:25], s[14:15], -v[14:15]
	v_add_f64_e32 v[10:11], v[157:158], v[10:11]
	v_fma_f64 v[157:158], v[112:113], s[18:19], v[86:87]
	v_fma_f64 v[38:39], v[96:97], s[0:1], v[36:37]
	v_fma_f64 v[34:35], v[100:101], s[0:1], -v[32:33]
	v_fma_f64 v[32:33], v[100:101], s[0:1], v[32:33]
	s_delay_alu instid0(VALU_DEP_4) | instskip(SKIP_1) | instid1(VALU_DEP_1)
	v_add_f64_e32 v[10:11], v[157:158], v[10:11]
	v_fma_f64 v[157:158], v[124:125], s[22:23], -v[30:31]
	v_add_f64_e32 v[159:160], v[157:158], v[6:7]
	v_mul_f64_e32 v[6:7], s[40:41], v[122:123]
	s_delay_alu instid0(VALU_DEP_1) | instskip(SKIP_1) | instid1(VALU_DEP_2)
	v_fma_f64 v[157:158], v[120:121], s[22:23], v[6:7]
	v_fma_f64 v[6:7], v[120:121], s[22:23], -v[6:7]
	v_add_f64_e32 v[157:158], v[157:158], v[10:11]
	v_mul_f64_e32 v[10:11], s[24:25], v[134:135]
	s_delay_alu instid0(VALU_DEP_1) | instskip(SKIP_1) | instid1(VALU_DEP_2)
	v_fma_f64 v[163:164], v[94:95], s[10:11], -v[10:11]
	v_fma_f64 v[10:11], v[94:95], s[10:11], v[10:11]
	v_add_f64_e32 v[161:162], v[163:164], v[161:162]
	v_fma_f64 v[163:164], v[92:93], s[10:11], v[234:235]
	s_delay_alu instid0(VALU_DEP_2) | instskip(NEXT) | instid1(VALU_DEP_2)
	v_add_f64_e32 v[34:35], v[34:35], v[161:162]
	v_add_f64_e32 v[88:89], v[163:164], v[88:89]
	s_delay_alu instid0(VALU_DEP_1) | instskip(SKIP_1) | instid1(VALU_DEP_2)
	v_add_f64_e32 v[38:39], v[38:39], v[88:89]
	v_mul_f64_e32 v[88:89], s[52:53], v[106:107]
	v_add_f64_e32 v[38:39], v[42:43], v[38:39]
	s_delay_alu instid0(VALU_DEP_2) | instskip(SKIP_1) | instid1(VALU_DEP_3)
	v_fma_f64 v[161:162], v[18:19], s[14:15], -v[88:89]
	v_mul_f64_e32 v[42:43], s[34:35], v[110:111]
	v_add_f64_e32 v[38:39], v[46:47], v[38:39]
	s_delay_alu instid0(VALU_DEP_3) | instskip(NEXT) | instid1(VALU_DEP_3)
	v_add_f64_e32 v[34:35], v[161:162], v[34:35]
	v_fma_f64 v[161:162], v[22:23], s[20:21], -v[42:43]
	v_mul_f64_e32 v[46:47], s[28:29], v[128:129]
	v_mul_f64_e32 v[128:129], s[26:27], v[128:129]
	v_add_f64_e32 v[38:39], v[50:51], v[38:39]
	v_mul_f64_e32 v[50:51], s[42:43], v[118:119]
	v_add_f64_e32 v[34:35], v[161:162], v[34:35]
	v_fma_f64 v[161:162], v[26:27], s[22:23], -v[46:47]
	v_mul_f64_e32 v[118:119], s[28:29], v[118:119]
	v_add_f64_e32 v[38:39], v[54:55], v[38:39]
	v_mul_f64_e32 v[54:55], s[38:39], v[126:127]
	v_mul_f64_e32 v[126:127], s[24:25], v[126:127]
	v_add_f64_e32 v[34:35], v[161:162], v[34:35]
	v_fma_f64 v[161:162], v[116:117], s[16:17], -v[50:51]
	s_delay_alu instid0(VALU_DEP_1) | instskip(SKIP_1) | instid1(VALU_DEP_1)
	v_add_f64_e32 v[34:35], v[161:162], v[34:35]
	v_fma_f64 v[161:162], v[124:125], s[2:3], -v[54:55]
	v_add_f64_e32 v[163:164], v[161:162], v[34:35]
	v_mul_f64_e32 v[34:35], s[38:39], v[122:123]
	s_delay_alu instid0(VALU_DEP_1) | instskip(SKIP_1) | instid1(VALU_DEP_2)
	v_fma_f64 v[161:162], v[120:121], s[2:3], v[34:35]
	v_fma_f64 v[34:35], v[120:121], s[2:3], -v[34:35]
	v_add_f64_e32 v[161:162], v[161:162], v[38:39]
	v_mul_f64_e32 v[38:39], s[30:31], v[134:135]
	s_delay_alu instid0(VALU_DEP_1) | instskip(SKIP_1) | instid1(VALU_DEP_2)
	v_fma_f64 v[165:166], v[94:95], s[0:1], -v[38:39]
	v_fma_f64 v[38:39], v[94:95], s[0:1], v[38:39]
	v_add_f64_e32 v[165:166], v[165:166], v[206:207]
	v_mul_f64_e32 v[206:207], s[30:31], v[132:133]
	v_mul_f64_e32 v[132:133], s[46:47], v[132:133]
	s_delay_alu instid0(VALU_DEP_3) | instskip(NEXT) | instid1(VALU_DEP_3)
	v_add_f64_e32 v[58:59], v[58:59], v[165:166]
	v_fma_f64 v[167:168], v[92:93], s[0:1], v[206:207]
	s_delay_alu instid0(VALU_DEP_1) | instskip(NEXT) | instid1(VALU_DEP_1)
	v_add_f64_e32 v[90:91], v[167:168], v[90:91]
	v_add_f64_e32 v[62:63], v[62:63], v[90:91]
	v_mul_f64_e32 v[90:91], s[40:41], v[106:107]
	s_delay_alu instid0(VALU_DEP_2) | instskip(NEXT) | instid1(VALU_DEP_2)
	v_add_f64_e32 v[62:63], v[66:67], v[62:63]
	v_fma_f64 v[165:166], v[18:19], s[22:23], -v[90:91]
	v_mul_f64_e32 v[66:67], s[36:37], v[110:111]
	v_mul_f64_e32 v[110:111], s[30:31], v[110:111]
	s_delay_alu instid0(VALU_DEP_3) | instskip(NEXT) | instid1(VALU_DEP_3)
	v_add_f64_e32 v[58:59], v[165:166], v[58:59]
	v_fma_f64 v[165:166], v[22:23], s[18:19], -v[66:67]
	s_delay_alu instid0(VALU_DEP_1) | instskip(SKIP_1) | instid1(VALU_DEP_1)
	v_add_f64_e32 v[58:59], v[165:166], v[58:59]
	v_fma_f64 v[165:166], v[20:21], s[18:19], v[68:69]
	v_add_f64_e32 v[62:63], v[165:166], v[62:63]
	v_fma_f64 v[165:166], v[26:27], s[2:3], -v[175:176]
	s_delay_alu instid0(VALU_DEP_1) | instskip(SKIP_1) | instid1(VALU_DEP_1)
	v_add_f64_e32 v[58:59], v[165:166], v[58:59]
	v_fma_f64 v[165:166], v[24:25], s[2:3], v[236:237]
	;; [unrolled: 5-line block ×3, first 2 shown]
	v_add_f64_e32 v[62:63], v[165:166], v[62:63]
	v_fma_f64 v[165:166], v[124:125], s[20:21], -v[240:241]
	s_delay_alu instid0(VALU_DEP_1) | instskip(SKIP_2) | instid1(VALU_DEP_2)
	v_add_f64_e32 v[167:168], v[165:166], v[58:59]
	v_mul_f64_e32 v[58:59], s[34:35], v[122:123]
	v_mul_f64_e32 v[122:123], s[24:25], v[122:123]
	v_fma_f64 v[165:166], v[120:121], s[20:21], v[58:59]
	v_fma_f64 v[58:59], v[120:121], s[20:21], -v[58:59]
	s_delay_alu instid0(VALU_DEP_2) | instskip(SKIP_1) | instid1(VALU_DEP_1)
	v_add_f64_e32 v[165:166], v[165:166], v[62:63]
	v_mul_f64_e32 v[62:63], s[46:47], v[134:135]
	v_fma_f64 v[134:135], v[94:95], s[2:3], -v[62:63]
	v_fma_f64 v[62:63], v[94:95], s[2:3], v[62:63]
	s_delay_alu instid0(VALU_DEP_2) | instskip(SKIP_2) | instid1(VALU_DEP_2)
	v_add_f64_e32 v[134:135], v[134:135], v[169:170]
	v_fma_f64 v[169:170], v[92:93], s[2:3], v[132:133]
	v_fma_f64 v[132:133], v[92:93], s[2:3], -v[132:133]
	v_add_f64_e32 v[169:170], v[169:170], v[171:172]
	v_fma_f64 v[171:172], v[100:101], s[20:21], -v[130:131]
	v_fma_f64 v[130:131], v[100:101], s[20:21], v[130:131]
	s_delay_alu instid0(VALU_DEP_2) | instskip(SKIP_2) | instid1(VALU_DEP_2)
	v_add_f64_e32 v[134:135], v[171:172], v[134:135]
	v_fma_f64 v[171:172], v[96:97], s[20:21], v[98:99]
	v_fma_f64 v[98:99], v[96:97], s[20:21], -v[98:99]
	v_add_f64_e32 v[169:170], v[171:172], v[169:170]
	v_mul_f64_e32 v[171:172], s[36:37], v[106:107]
	s_delay_alu instid0(VALU_DEP_1) | instskip(NEXT) | instid1(VALU_DEP_1)
	v_fma_f64 v[106:107], v[18:19], s[18:19], -v[171:172]
	v_add_f64_e32 v[106:107], v[106:107], v[134:135]
	v_mul_f64_e32 v[134:135], s[36:37], v[102:103]
	s_delay_alu instid0(VALU_DEP_1) | instskip(NEXT) | instid1(VALU_DEP_1)
	v_fma_f64 v[102:103], v[16:17], s[18:19], v[134:135]
	v_add_f64_e32 v[102:103], v[102:103], v[169:170]
	v_fma_f64 v[169:170], v[22:23], s[0:1], -v[110:111]
	v_fma_f64 v[110:111], v[22:23], s[0:1], v[110:111]
	s_delay_alu instid0(VALU_DEP_2) | instskip(SKIP_1) | instid1(VALU_DEP_1)
	v_add_f64_e32 v[106:107], v[169:170], v[106:107]
	v_mul_f64_e32 v[169:170], s[30:31], v[104:105]
	v_fma_f64 v[104:105], v[20:21], s[0:1], v[169:170]
	s_delay_alu instid0(VALU_DEP_1) | instskip(SKIP_1) | instid1(VALU_DEP_1)
	v_add_f64_e32 v[102:103], v[104:105], v[102:103]
	v_fma_f64 v[104:105], v[26:27], s[16:17], -v[128:129]
	v_add_f64_e32 v[104:105], v[104:105], v[106:107]
	v_fma_f64 v[106:107], v[24:25], s[16:17], v[72:73]
	v_fma_f64 v[72:73], v[24:25], s[16:17], -v[72:73]
	s_delay_alu instid0(VALU_DEP_2) | instskip(SKIP_1) | instid1(VALU_DEP_1)
	v_add_f64_e32 v[102:103], v[106:107], v[102:103]
	v_fma_f64 v[106:107], v[116:117], s[22:23], -v[118:119]
	v_add_f64_e32 v[104:105], v[106:107], v[104:105]
	v_fma_f64 v[106:107], v[112:113], s[22:23], v[114:115]
	s_delay_alu instid0(VALU_DEP_1) | instskip(SKIP_1) | instid1(VALU_DEP_1)
	v_add_f64_e32 v[102:103], v[106:107], v[102:103]
	v_fma_f64 v[106:107], v[124:125], s[10:11], -v[126:127]
	v_add_f64_e32 v[104:105], v[106:107], v[104:105]
	v_fma_f64 v[106:107], v[120:121], s[10:11], v[122:123]
	s_delay_alu instid0(VALU_DEP_1)
	v_add_f64_e32 v[102:103], v[106:107], v[102:103]
	v_fma_f64 v[106:107], v[94:95], s[14:15], -v[177:178]
	scratch_load_b64 v[177:178], off, off offset:220 th:TH_LOAD_LU ; 8-byte Folded Reload
	s_wait_loadcnt 0x1
	v_add_f64_e32 v[106:107], v[106:107], v[108:109]
	v_fma_f64 v[108:109], v[92:93], s[14:15], v[179:180]
	v_fma_f64 v[179:180], v[120:121], s[18:19], v[222:223]
	s_wait_loadcnt 0x0
	s_delay_alu instid0(VALU_DEP_2) | instskip(SKIP_1) | instid1(VALU_DEP_1)
	v_add_f64_e32 v[108:109], v[108:109], v[177:178]
	v_fma_f64 v[177:178], v[100:101], s[22:23], -v[12:13]
	v_add_f64_e32 v[106:107], v[177:178], v[106:107]
	v_fma_f64 v[177:178], v[96:97], s[22:23], v[8:9]
	scratch_load_b64 v[8:9], off, off offset:196 th:TH_LOAD_LU ; 8-byte Folded Reload
	v_add_f64_e32 v[108:109], v[177:178], v[108:109]
	v_fma_f64 v[177:178], v[18:19], s[2:3], -v[194:195]
	s_delay_alu instid0(VALU_DEP_1) | instskip(SKIP_1) | instid1(VALU_DEP_1)
	v_add_f64_e32 v[106:107], v[177:178], v[106:107]
	v_fma_f64 v[177:178], v[16:17], s[2:3], v[196:197]
	v_add_f64_e32 v[108:109], v[177:178], v[108:109]
	v_fma_f64 v[177:178], v[22:23], s[16:17], -v[208:209]
	s_delay_alu instid0(VALU_DEP_1) | instskip(SKIP_1) | instid1(VALU_DEP_1)
	v_add_f64_e32 v[106:107], v[177:178], v[106:107]
	v_fma_f64 v[177:178], v[20:21], s[16:17], v[210:211]
	;; [unrolled: 5-line block ×3, first 2 shown]
	v_add_f64_e32 v[108:109], v[177:178], v[108:109]
	v_fma_f64 v[177:178], v[116:117], s[0:1], -v[216:217]
	s_delay_alu instid0(VALU_DEP_1)
	v_add_f64_e32 v[106:107], v[177:178], v[106:107]
	v_fma_f64 v[177:178], v[112:113], s[0:1], v[218:219]
	s_wait_loadcnt 0x0
	v_add_f64_e32 v[62:63], v[62:63], v[8:9]
	scratch_load_b64 v[8:9], off, off offset:188 th:TH_LOAD_LU ; 8-byte Folded Reload
	v_add_f64_e32 v[177:178], v[177:178], v[108:109]
	v_fma_f64 v[108:109], v[124:125], s[18:19], -v[220:221]
	v_dual_mov_b32 v221, v188 :: v_dual_mov_b32 v220, v187
	v_dual_mov_b32 v219, v186 :: v_dual_mov_b32 v218, v185
	v_add_f64_e32 v[62:63], v[130:131], v[62:63]
	v_fma_f64 v[130:131], v[18:19], s[18:19], v[171:172]
	v_add_f64_e32 v[108:109], v[108:109], v[106:107]
	v_add_f64_e32 v[106:107], v[179:180], v[177:178]
	s_delay_alu instid0(VALU_DEP_3) | instskip(SKIP_1) | instid1(VALU_DEP_2)
	v_add_f64_e32 v[62:63], v[130:131], v[62:63]
	v_fma_f64 v[130:131], v[16:17], s[18:19], -v[134:135]
	v_add_f64_e32 v[62:63], v[110:111], v[62:63]
	v_fma_f64 v[110:111], v[20:21], s[0:1], -v[169:170]
	s_wait_loadcnt 0x0
	v_add_f64_e32 v[132:133], v[132:133], v[8:9]
	scratch_load_b64 v[8:9], off, off offset:164 th:TH_LOAD_LU ; 8-byte Folded Reload
	v_add_f64_e32 v[98:99], v[98:99], v[132:133]
	s_delay_alu instid0(VALU_DEP_1) | instskip(NEXT) | instid1(VALU_DEP_1)
	v_add_f64_e32 v[98:99], v[130:131], v[98:99]
	v_add_f64_e32 v[98:99], v[110:111], v[98:99]
	v_fma_f64 v[110:111], v[26:27], s[16:17], v[128:129]
	s_delay_alu instid0(VALU_DEP_2) | instskip(NEXT) | instid1(VALU_DEP_2)
	v_add_f64_e32 v[72:73], v[72:73], v[98:99]
	v_add_f64_e32 v[62:63], v[110:111], v[62:63]
	v_fma_f64 v[98:99], v[116:117], s[22:23], v[118:119]
	v_fma_f64 v[110:111], v[120:121], s[10:11], -v[122:123]
	s_delay_alu instid0(VALU_DEP_2) | instskip(SKIP_1) | instid1(VALU_DEP_1)
	v_add_f64_e32 v[62:63], v[98:99], v[62:63]
	v_fma_f64 v[98:99], v[112:113], s[22:23], -v[114:115]
	v_add_f64_e32 v[72:73], v[98:99], v[72:73]
	v_fma_f64 v[98:99], v[124:125], s[10:11], v[126:127]
	s_delay_alu instid0(VALU_DEP_2) | instskip(NEXT) | instid1(VALU_DEP_2)
	v_add_f64_e32 v[126:127], v[110:111], v[72:73]
	v_add_f64_e32 v[128:129], v[98:99], v[62:63]
	s_wait_loadcnt 0x0
	v_add_f64_e32 v[38:39], v[38:39], v[8:9]
	s_delay_alu instid0(VALU_DEP_1) | instskip(SKIP_1) | instid1(VALU_DEP_1)
	v_add_f64_e32 v[38:39], v[56:57], v[38:39]
	v_fma_f64 v[56:57], v[18:19], s[22:23], v[90:91]
	v_add_f64_e32 v[38:39], v[56:57], v[38:39]
	v_fma_f64 v[56:57], v[22:23], s[18:19], v[66:67]
	s_delay_alu instid0(VALU_DEP_1) | instskip(SKIP_1) | instid1(VALU_DEP_1)
	v_add_f64_e32 v[38:39], v[56:57], v[38:39]
	v_fma_f64 v[56:57], v[26:27], s[2:3], v[175:176]
	v_add_f64_e32 v[38:39], v[56:57], v[38:39]
	v_fma_f64 v[56:57], v[92:93], s[0:1], -v[206:207]
	s_clause 0x1
	scratch_load_b128 v[206:209], off, off offset:20
	scratch_load_b64 v[8:9], off, off offset:156 th:TH_LOAD_LU
	s_wait_loadcnt 0x0
	v_add_f64_e32 v[56:57], v[56:57], v[8:9]
	s_delay_alu instid0(VALU_DEP_1)
	v_add_f64_e32 v[56:57], v[60:61], v[56:57]
	v_fma_f64 v[60:61], v[16:17], s[22:23], -v[64:65]
	v_dual_mov_b32 v64, v80 :: v_dual_mov_b32 v65, v81
	v_dual_mov_b32 v66, v82 :: v_dual_mov_b32 v67, v83
	;; [unrolled: 1-line block ×4, first 2 shown]
	v_add_f64_e32 v[56:57], v[60:61], v[56:57]
	v_fma_f64 v[60:61], v[20:21], s[18:19], -v[68:69]
	s_delay_alu instid0(VALU_DEP_1)
	v_add_f64_e32 v[56:57], v[60:61], v[56:57]
	v_fma_f64 v[60:61], v[24:25], s[2:3], -v[236:237]
	v_dual_mov_b32 v237, v5 :: v_dual_mov_b32 v236, v4
	scratch_load_b64 v[4:5], off, off offset:148 th:TH_LOAD_LU ; 8-byte Folded Reload
	v_add_f64_e32 v[56:57], v[60:61], v[56:57]
	v_fma_f64 v[60:61], v[116:117], s[10:11], v[191:192]
	v_mov_b32_e32 v191, v189
	s_delay_alu instid0(VALU_DEP_2) | instskip(SKIP_1) | instid1(VALU_DEP_1)
	v_add_f64_e32 v[38:39], v[60:61], v[38:39]
	v_fma_f64 v[60:61], v[112:113], s[10:11], -v[238:239]
	v_add_f64_e32 v[56:57], v[60:61], v[56:57]
	v_fma_f64 v[60:61], v[124:125], s[20:21], v[240:241]
	s_delay_alu instid0(VALU_DEP_2) | instskip(NEXT) | instid1(VALU_DEP_2)
	v_add_f64_e32 v[130:131], v[58:59], v[56:57]
	v_add_f64_e32 v[132:133], v[60:61], v[38:39]
	v_fma_f64 v[38:39], v[92:93], s[10:11], -v[234:235]
	v_dual_mov_b32 v235, v140 :: v_dual_mov_b32 v234, v193
	v_dual_mov_b32 v140, v143 :: v_dual_mov_b32 v143, v152
	s_wait_loadcnt 0x0
	v_add_f64_e32 v[10:11], v[10:11], v[4:5]
	scratch_load_b64 v[4:5], off, off offset:140 th:TH_LOAD_LU ; 8-byte Folded Reload
	v_add_f64_e32 v[10:11], v[32:33], v[10:11]
	v_fma_f64 v[32:33], v[96:97], s[0:1], -v[36:37]
	v_fma_f64 v[36:37], v[18:19], s[14:15], v[88:89]
	s_delay_alu instid0(VALU_DEP_1) | instskip(SKIP_3) | instid1(VALU_DEP_1)
	v_add_f64_e32 v[10:11], v[36:37], v[10:11]
	v_fma_f64 v[36:37], v[16:17], s[14:15], -v[40:41]
	s_wait_loadcnt 0x0
	v_add_f64_e32 v[38:39], v[38:39], v[4:5]
	v_add_f64_e32 v[32:33], v[32:33], v[38:39]
	s_delay_alu instid0(VALU_DEP_1) | instskip(SKIP_1) | instid1(VALU_DEP_1)
	v_add_f64_e32 v[32:33], v[36:37], v[32:33]
	v_fma_f64 v[36:37], v[22:23], s[20:21], v[42:43]
	v_add_f64_e32 v[10:11], v[36:37], v[10:11]
	v_fma_f64 v[36:37], v[20:21], s[20:21], -v[44:45]
	s_delay_alu instid0(VALU_DEP_1)
	v_add_f64_e32 v[32:33], v[36:37], v[32:33]
	v_fma_f64 v[36:37], v[26:27], s[22:23], v[46:47]
	v_dual_mov_b32 v44, v76 :: v_dual_mov_b32 v45, v77
	v_dual_mov_b32 v46, v78 :: v_dual_mov_b32 v47, v79
	;; [unrolled: 1-line block ×4, first 2 shown]
	s_clause 0x1
	scratch_load_b64 v[0:1], off, off offset:116 th:TH_LOAD_LU
	scratch_load_b64 v[2:3], off, off offset:244 th:TH_LOAD_LU
	v_add_f64_e32 v[10:11], v[36:37], v[10:11]
	v_fma_f64 v[36:37], v[24:25], s[22:23], -v[48:49]
	s_delay_alu instid0(VALU_DEP_1) | instskip(SKIP_1) | instid1(VALU_DEP_1)
	v_add_f64_e32 v[32:33], v[36:37], v[32:33]
	v_fma_f64 v[36:37], v[116:117], s[16:17], v[50:51]
	v_add_f64_e32 v[10:11], v[36:37], v[10:11]
	v_fma_f64 v[36:37], v[112:113], s[16:17], -v[52:53]
	s_delay_alu instid0(VALU_DEP_1) | instskip(SKIP_1) | instid1(VALU_DEP_2)
	v_add_f64_e32 v[32:33], v[36:37], v[32:33]
	v_fma_f64 v[36:37], v[124:125], s[2:3], v[54:55]
	v_add_f64_e32 v[169:170], v[34:35], v[32:33]
	s_delay_alu instid0(VALU_DEP_2) | instskip(SKIP_4) | instid1(VALU_DEP_3)
	v_add_f64_e32 v[171:172], v[36:37], v[10:11]
	v_fma_f64 v[10:11], v[94:95], s[16:17], v[252:253]
	v_fma_f64 v[32:33], v[92:93], s[16:17], -v[173:174]
	v_fma_f64 v[34:35], v[100:101], s[10:11], v[204:205]
	s_wait_loadcnt 0x1
	v_add_f64_e32 v[10:11], v[10:11], v[0:1]
	scratch_load_b64 v[0:1], off, off offset:108 th:TH_LOAD_LU ; 8-byte Folded Reload
	v_add_f64_e32 v[10:11], v[34:35], v[10:11]
	s_wait_loadcnt 0x0
	v_add_f64_e32 v[32:33], v[32:33], v[0:1]
	v_fma_f64 v[0:1], v[96:97], s[10:11], -v[202:203]
	s_delay_alu instid0(VALU_DEP_1) | instskip(SKIP_2) | instid1(VALU_DEP_3)
	v_add_f64_e32 v[0:1], v[0:1], v[32:33]
	v_fma_f64 v[32:33], v[18:19], s[0:1], v[254:255]
	v_mov_b32_e32 v255, v190
	v_add_f64_e32 v[0:1], v[28:29], v[0:1]
	s_delay_alu instid0(VALU_DEP_3) | instskip(SKIP_3) | instid1(VALU_DEP_3)
	v_add_f64_e32 v[10:11], v[32:33], v[10:11]
	v_fma_f64 v[28:29], v[22:23], s[2:3], v[224:225]
	v_dual_mov_b32 v225, v139 :: v_dual_mov_b32 v224, v138
	v_dual_mov_b32 v223, v137 :: v_dual_mov_b32 v222, v136
	v_add_f64_e32 v[10:11], v[28:29], v[10:11]
	v_fma_f64 v[28:29], v[20:21], s[2:3], -v[84:85]
	s_delay_alu instid0(VALU_DEP_1)
	v_add_f64_e32 v[0:1], v[28:29], v[0:1]
	v_fma_f64 v[28:29], v[26:27], s[14:15], v[74:75]
	v_mov_b32_e32 v72, v181
	v_dual_mov_b32 v74, v183 :: v_dual_mov_b32 v73, v182
	v_mov_b32_e32 v75, v184
	v_add_f64_e32 v[0:1], v[14:15], v[0:1]
	v_add_f64_e32 v[10:11], v[28:29], v[10:11]
	v_fma_f64 v[14:15], v[116:117], s[18:19], v[70:71]
	v_mov_b32_e32 v68, v148
	v_dual_mov_b32 v70, v150 :: v_dual_mov_b32 v69, v149
	v_mov_b32_e32 v71, v151
	scratch_load_b32 v148, off, off offset:36 ; 4-byte Folded Reload
	v_add_f64_e32 v[10:11], v[14:15], v[10:11]
	v_fma_f64 v[14:15], v[112:113], s[18:19], -v[86:87]
	s_delay_alu instid0(VALU_DEP_1) | instskip(SKIP_1) | instid1(VALU_DEP_2)
	v_add_f64_e32 v[0:1], v[14:15], v[0:1]
	v_fma_f64 v[14:15], v[124:125], s[22:23], v[30:31]
	v_add_f64_e32 v[88:89], v[6:7], v[0:1]
	scratch_load_b64 v[0:1], off, off offset:236 th:TH_LOAD_LU ; 8-byte Folded Reload
	v_fma_f64 v[6:7], v[92:93], s[20:21], -v[2:3]
	scratch_load_b64 v[2:3], off, off offset:252 th:TH_LOAD_LU ; 8-byte Folded Reload
	v_add_f64_e32 v[90:91], v[14:15], v[10:11]
	s_wait_loadcnt 0x0
	v_fma_f64 v[10:11], v[100:101], s[18:19], v[2:3]
	scratch_load_b64 v[2:3], off, off offset:100 th:TH_LOAD_LU ; 8-byte Folded Reload
	v_fma_f64 v[0:1], v[94:95], s[20:21], v[0:1]
	s_wait_loadcnt 0x0
	s_delay_alu instid0(VALU_DEP_1)
	v_add_f64_e32 v[0:1], v[0:1], v[2:3]
	scratch_load_b64 v[2:3], off, off offset:260 th:TH_LOAD_LU ; 8-byte Folded Reload
	v_add_f64_e32 v[0:1], v[10:11], v[0:1]
	s_wait_loadcnt 0x0
	v_fma_f64 v[14:15], v[96:97], s[18:19], -v[2:3]
	scratch_load_b64 v[2:3], off, off offset:92 th:TH_LOAD_LU ; 8-byte Folded Reload
	s_wait_loadcnt 0x0
	v_add_f64_e32 v[6:7], v[6:7], v[2:3]
	scratch_load_b64 v[2:3], off, off offset:268 th:TH_LOAD_LU ; 8-byte Folded Reload
	v_add_f64_e32 v[6:7], v[14:15], v[6:7]
	s_wait_loadcnt 0x0
	v_fma_f64 v[18:19], v[18:19], s[16:17], v[2:3]
	scratch_load_b64 v[2:3], off, off offset:276 th:TH_LOAD_LU ; 8-byte Folded Reload
	v_add_f64_e32 v[0:1], v[18:19], v[0:1]
	s_wait_loadcnt 0x0
	v_fma_f64 v[10:11], v[16:17], s[16:17], -v[2:3]
	scratch_load_b64 v[2:3], off, off offset:284 th:TH_LOAD_LU ; 8-byte Folded Reload
	v_add_f64_e32 v[6:7], v[10:11], v[6:7]
	s_wait_loadcnt 0x0
	v_fma_f64 v[12:13], v[22:23], s[14:15], v[2:3]
	scratch_load_b64 v[2:3], off, off offset:292 th:TH_LOAD_LU ; 8-byte Folded Reload
	v_add_f64_e32 v[0:1], v[12:13], v[0:1]
	s_wait_loadcnt 0x0
	v_fma_f64 v[8:9], v[20:21], s[14:15], -v[2:3]
	scratch_load_b64 v[2:3], off, off offset:300 th:TH_LOAD_LU ; 8-byte Folded Reload
	v_add_f64_e32 v[6:7], v[8:9], v[6:7]
	scratch_load_b64 v[8:9], off, off offset:332 th:TH_LOAD_LU ; 8-byte Folded Reload
	s_wait_loadcnt 0x1
	v_fma_f64 v[4:5], v[26:27], s[10:11], v[2:3]
	scratch_load_b64 v[2:3], off, off offset:308 th:TH_LOAD_LU ; 8-byte Folded Reload
	v_add_f64_e32 v[0:1], v[4:5], v[0:1]
	scratch_load_b64 v[4:5], off, off offset:324 th:TH_LOAD_LU ; 8-byte Folded Reload
	s_wait_loadcnt 0x2
	v_fma_f64 v[8:9], v[124:125], s[0:1], v[8:9]
	s_wait_loadcnt 0x1
	v_fma_f64 v[10:11], v[24:25], s[10:11], -v[2:3]
	scratch_load_b64 v[2:3], off, off offset:316 th:TH_LOAD_LU ; 8-byte Folded Reload
	s_wait_loadcnt 0x1
	v_fma_f64 v[4:5], v[112:113], s[2:3], -v[4:5]
	v_add_f64_e32 v[6:7], v[10:11], v[6:7]
	s_delay_alu instid0(VALU_DEP_1) | instskip(SKIP_2) | instid1(VALU_DEP_1)
	v_add_f64_e32 v[4:5], v[4:5], v[6:7]
	s_wait_loadcnt 0x0
	v_fma_f64 v[2:3], v[116:117], s[2:3], v[2:3]
	v_add_f64_e32 v[0:1], v[2:3], v[0:1]
	v_fma_f64 v[2:3], v[120:121], s[0:1], -v[250:251]
	s_delay_alu instid0(VALU_DEP_2)
	v_add_f64_e32 v[18:19], v[8:9], v[0:1]
	s_clause 0x1
	scratch_load_b32 v0, off, off offset:16 th:TH_LOAD_LU
	scratch_load_b32 v1, off, off offset:12 th:TH_LOAD_LU
	v_add_f64_e32 v[16:17], v[2:3], v[4:5]
	s_wait_loadcnt 0x1
	v_and_b32_e32 v0, 0xffff, v0
	s_wait_loadcnt 0x0
	s_delay_alu instid0(VALU_DEP_1)
	v_lshl_add_u32 v0, v0, 4, v1
	scratch_load_b128 v[1:4], off, off offset:44 th:TH_LOAD_LU ; 16-byte Folded Reload
	s_wait_loadcnt 0x0
	ds_store_b128 v0, v[1:4]
	ds_store_b128 v0, v[153:156] offset:16
	ds_store_b128 v0, v[157:160] offset:32
	ds_store_b128 v0, v[161:164] offset:48
	ds_store_b128 v0, v[165:168] offset:64
	ds_store_b128 v0, v[102:105] offset:80
	ds_store_b128 v0, v[106:109] offset:96
	scratch_load_b128 v[1:4], off, off offset:172 th:TH_LOAD_LU ; 16-byte Folded Reload
	s_wait_loadcnt 0x0
	ds_store_b128 v0, v[1:4] offset:112
	scratch_load_b128 v[1:4], off, off offset:76 th:TH_LOAD_LU ; 16-byte Folded Reload
	s_wait_loadcnt 0x0
	ds_store_b128 v0, v[1:4] offset:128
	;; [unrolled: 3-line block ×5, first 2 shown]
	ds_store_b128 v0, v[126:129] offset:192
	ds_store_b128 v0, v[130:133] offset:208
	;; [unrolled: 1-line block ×5, first 2 shown]
.LBB0_13:
	s_or_b32 exec_lo, exec_lo, s33
	global_wb scope:SCOPE_SE
	s_wait_storecnt_dscnt 0x0
	s_barrier_signal -1
	s_barrier_wait -1
	global_inv scope:SCOPE_SE
	ds_load_b128 v[0:3], v142 offset:2720
	ds_load_b128 v[4:7], v142 offset:3264
	;; [unrolled: 1-line block ×6, first 2 shown]
	s_mov_b32 s10, 0x134454ff
	s_mov_b32 s11, 0xbfee6f0e
	;; [unrolled: 1-line block ×3, first 2 shown]
	s_wait_alu 0xfffe
	s_mov_b32 s0, s10
	s_mov_b32 s16, 0x4755a5e
	;; [unrolled: 1-line block ×4, first 2 shown]
	s_wait_alu 0xfffe
	s_mov_b32 s2, s16
	s_mov_b32 s14, 0x372fe950
	s_mov_b32 s15, 0x3fd3c6ef
	s_mov_b32 s18, 0x9b97f4a8
	s_mov_b32 s19, 0x3fe9e377
	s_mov_b32 s21, 0xbfd3c6ef
	s_wait_alu 0xfffe
	s_mov_b32 s20, s14
	s_wait_dscnt 0x5
	v_mul_f64_e32 v[24:25], v[208:209], v[2:3]
	v_mul_f64_e32 v[26:27], v[208:209], v[0:1]
	s_wait_dscnt 0x4
	v_mul_f64_e32 v[28:29], v[244:245], v[6:7]
	v_mul_f64_e32 v[30:31], v[244:245], v[4:5]
	;; [unrolled: 3-line block ×5, first 2 shown]
	s_mov_b32 s23, 0xbfe9e377
	s_mov_b32 s22, s18
	v_fma_f64 v[24:25], v[206:207], v[0:1], v[24:25]
	v_fma_f64 v[26:27], v[206:207], v[2:3], -v[26:27]
	v_fma_f64 v[28:29], v[242:243], v[4:5], v[28:29]
	v_fma_f64 v[30:31], v[242:243], v[6:7], -v[30:31]
	;; [unrolled: 2-line block ×5, first 2 shown]
	ds_load_b128 v[0:3], v142
	ds_load_b128 v[4:7], v142 offset:544
	ds_load_b128 v[8:11], v142 offset:1088
	ds_load_b128 v[12:15], v142 offset:1632
	global_wb scope:SCOPE_SE
	s_wait_dscnt 0x0
	s_barrier_signal -1
	s_barrier_wait -1
	global_inv scope:SCOPE_SE
	v_add_f64_e64 v[16:17], v[0:1], -v[24:25]
	v_add_f64_e64 v[18:19], v[2:3], -v[26:27]
	;; [unrolled: 1-line block ×10, first 2 shown]
	v_fma_f64 v[0:1], v[0:1], 2.0, -v[16:17]
	v_fma_f64 v[2:3], v[2:3], 2.0, -v[18:19]
	v_fma_f64 v[4:5], v[4:5], 2.0, -v[24:25]
	v_fma_f64 v[6:7], v[6:7], 2.0, -v[26:27]
	v_fma_f64 v[8:9], v[8:9], 2.0, -v[28:29]
	v_fma_f64 v[10:11], v[10:11], 2.0, -v[30:31]
	v_fma_f64 v[12:13], v[12:13], 2.0, -v[32:33]
	v_fma_f64 v[14:15], v[14:15], 2.0, -v[34:35]
	v_fma_f64 v[20:21], v[20:21], 2.0, -v[36:37]
	v_fma_f64 v[22:23], v[22:23], 2.0, -v[38:39]
	ds_store_b128 v237, v[0:3]
	ds_store_b128 v237, v[16:19] offset:272
	ds_store_b128 v236, v[4:7]
	ds_store_b128 v236, v[24:27] offset:272
	ds_store_b128 v235, v[8:11]
	ds_store_b128 v235, v[28:31] offset:272
	ds_store_b128 v234, v[12:15]
	ds_store_b128 v234, v[32:35] offset:272
	ds_store_b128 v148, v[20:23]
	ds_store_b128 v148, v[36:39] offset:272
	global_wb scope:SCOPE_SE
	s_wait_dscnt 0x0
	s_barrier_signal -1
	s_barrier_wait -1
	global_inv scope:SCOPE_SE
	ds_load_b128 v[0:3], v142 offset:1632
	ds_load_b128 v[4:7], v142 offset:2720
	;; [unrolled: 1-line block ×6, first 2 shown]
	s_wait_dscnt 0x5
	v_mul_f64_e32 v[24:25], v[220:221], v[0:1]
	s_wait_dscnt 0x4
	v_mul_f64_e32 v[26:27], v[228:229], v[4:5]
	;; [unrolled: 2-line block ×5, first 2 shown]
	v_mul_f64_e32 v[38:39], v[220:221], v[2:3]
	v_mul_f64_e32 v[40:41], v[228:229], v[6:7]
	v_mul_f64_e32 v[42:43], v[224:225], v[10:11]
	v_mul_f64_e32 v[44:45], v[232:233], v[14:15]
	s_wait_dscnt 0x0
	v_mul_f64_e32 v[48:49], v[82:83], v[20:21]
	v_mul_f64_e32 v[62:63], v[66:67], v[18:19]
	v_fma_f64 v[46:47], v[218:219], v[2:3], -v[24:25]
	v_fma_f64 v[6:7], v[226:227], v[6:7], -v[26:27]
	v_fma_f64 v[10:11], v[222:223], v[10:11], -v[28:29]
	v_fma_f64 v[14:15], v[230:231], v[14:15], -v[30:31]
	ds_load_b128 v[24:27], v142 offset:2176
	ds_load_b128 v[28:31], v142 offset:3264
	;; [unrolled: 1-line block ×3, first 2 shown]
	v_mul_f64_e32 v[2:3], v[82:83], v[22:23]
	v_fma_f64 v[38:39], v[218:219], v[0:1], v[38:39]
	v_fma_f64 v[4:5], v[226:227], v[4:5], v[40:41]
	;; [unrolled: 1-line block ×4, first 2 shown]
	v_fma_f64 v[18:19], v[64:65], v[18:19], -v[36:37]
	v_fma_f64 v[22:23], v[80:81], v[22:23], -v[48:49]
	v_fma_f64 v[16:17], v[64:65], v[16:17], v[62:63]
	s_wait_dscnt 0x2
	v_mul_f64_e32 v[50:51], v[78:79], v[26:27]
	v_mul_f64_e32 v[52:53], v[78:79], v[24:25]
	s_wait_dscnt 0x1
	v_mul_f64_e32 v[54:55], v[74:75], v[30:31]
	s_wait_dscnt 0x0
	v_mul_f64_e32 v[56:57], v[70:71], v[34:35]
	v_mul_f64_e32 v[58:59], v[74:75], v[28:29]
	;; [unrolled: 1-line block ×3, first 2 shown]
	v_add_f64_e64 v[62:63], v[46:47], -v[6:7]
	v_add_f64_e32 v[0:1], v[6:7], v[10:11]
	v_add_f64_e32 v[36:37], v[46:47], v[14:15]
	v_add_f64_e64 v[64:65], v[14:15], -v[10:11]
	v_fma_f64 v[20:21], v[80:81], v[20:21], v[2:3]
	v_add_f64_e64 v[66:67], v[6:7], -v[46:47]
	v_add_f64_e64 v[70:71], v[6:7], -v[10:11]
	v_add_f64_e32 v[40:41], v[4:5], v[8:9]
	v_add_f64_e32 v[42:43], v[38:39], v[12:13]
	v_add_f64_e64 v[44:45], v[38:39], -v[12:13]
	v_add_f64_e64 v[48:49], v[4:5], -v[8:9]
	;; [unrolled: 1-line block ×5, first 2 shown]
	v_fma_f64 v[24:25], v[76:77], v[24:25], v[50:51]
	v_fma_f64 v[26:27], v[76:77], v[26:27], -v[52:53]
	v_fma_f64 v[28:29], v[72:73], v[28:29], v[54:55]
	v_fma_f64 v[32:33], v[68:69], v[32:33], v[56:57]
	v_fma_f64 v[30:31], v[72:73], v[30:31], -v[58:59]
	v_fma_f64 v[34:35], v[68:69], v[34:35], -v[60:61]
	v_add_f64_e64 v[60:61], v[46:47], -v[14:15]
	v_add_f64_e64 v[68:69], v[10:11], -v[14:15]
	v_fma_f64 v[50:51], v[0:1], -0.5, v[18:19]
	v_fma_f64 v[36:37], v[36:37], -0.5, v[18:19]
	ds_load_b128 v[0:3], v142
	v_add_f64_e32 v[18:19], v[18:19], v[46:47]
	v_fma_f64 v[40:41], v[40:41], -0.5, v[16:17]
	v_fma_f64 v[42:43], v[42:43], -0.5, v[16:17]
	v_add_f64_e32 v[16:17], v[16:17], v[38:39]
	v_add_f64_e64 v[38:39], v[4:5], -v[38:39]
	v_add_f64_e64 v[90:91], v[22:23], -v[26:27]
	v_add_f64_e32 v[52:53], v[24:25], v[28:29]
	v_add_f64_e32 v[54:55], v[20:21], v[32:33]
	;; [unrolled: 1-line block ×4, first 2 shown]
	s_wait_dscnt 0x0
	v_add_f64_e32 v[76:77], v[0:1], v[20:21]
	v_add_f64_e32 v[82:83], v[2:3], v[22:23]
	v_add_f64_e64 v[78:79], v[22:23], -v[34:35]
	v_add_f64_e64 v[80:81], v[26:27], -v[30:31]
	;; [unrolled: 1-line block ×5, first 2 shown]
	v_fma_f64 v[72:73], v[44:45], s[0:1], v[50:51]
	v_fma_f64 v[74:75], v[48:49], s[10:11], v[36:37]
	;; [unrolled: 1-line block ×4, first 2 shown]
	v_add_f64_e32 v[6:7], v[18:19], v[6:7]
	v_add_f64_e32 v[4:5], v[16:17], v[4:5]
	;; [unrolled: 1-line block ×4, first 2 shown]
	v_fma_f64 v[46:47], v[52:53], -0.5, v[0:1]
	v_add_f64_e64 v[52:53], v[20:21], -v[32:33]
	v_fma_f64 v[0:1], v[54:55], -0.5, v[0:1]
	v_add_f64_e64 v[54:55], v[24:25], -v[28:29]
	v_fma_f64 v[56:57], v[56:57], -0.5, v[2:3]
	v_fma_f64 v[2:3], v[58:59], -0.5, v[2:3]
	v_add_f64_e32 v[58:59], v[62:63], v[64:65]
	v_add_f64_e32 v[62:63], v[66:67], v[68:69]
	v_fma_f64 v[64:65], v[60:61], s[10:11], v[40:41]
	v_fma_f64 v[40:41], v[60:61], s[0:1], v[40:41]
	;; [unrolled: 1-line block ×4, first 2 shown]
	v_add_f64_e32 v[26:27], v[82:83], v[26:27]
	v_add_f64_e32 v[22:23], v[22:23], v[94:95]
	v_fma_f64 v[68:69], v[48:49], s[2:3], v[72:73]
	v_fma_f64 v[72:73], v[44:45], s[2:3], v[74:75]
	v_fma_f64 v[36:37], v[44:45], s[16:17], v[36:37]
	v_fma_f64 v[44:45], v[48:49], s[16:17], v[50:51]
	v_add_f64_e64 v[48:49], v[20:21], -v[24:25]
	v_add_f64_e64 v[20:21], v[24:25], -v[20:21]
	v_add_f64_e32 v[24:25], v[76:77], v[24:25]
	v_add_f64_e64 v[50:51], v[32:33], -v[28:29]
	v_add_f64_e64 v[74:75], v[28:29], -v[32:33]
	v_add_f64_e32 v[4:5], v[4:5], v[8:9]
	v_add_f64_e32 v[6:7], v[6:7], v[10:11]
	v_fma_f64 v[18:19], v[78:79], s[10:11], v[46:47]
	v_fma_f64 v[46:47], v[78:79], s[0:1], v[46:47]
	;; [unrolled: 1-line block ×12, first 2 shown]
	v_add_f64_e32 v[26:27], v[26:27], v[30:31]
	v_fma_f64 v[60:61], v[58:59], s[14:15], v[68:69]
	v_fma_f64 v[68:69], v[62:63], s[14:15], v[72:73]
	;; [unrolled: 1-line block ×4, first 2 shown]
	v_add_f64_e32 v[24:25], v[24:25], v[28:29]
	v_add_f64_e32 v[48:49], v[48:49], v[50:51]
	;; [unrolled: 1-line block ×6, first 2 shown]
	v_fma_f64 v[8:9], v[80:81], s[16:17], v[18:19]
	v_fma_f64 v[10:11], v[80:81], s[2:3], v[46:47]
	;; [unrolled: 1-line block ×12, first 2 shown]
	v_add_f64_e32 v[26:27], v[26:27], v[34:35]
	v_mul_f64_e32 v[42:43], s[16:17], v[60:61]
	v_mul_f64_e32 v[60:61], s[18:19], v[60:61]
	;; [unrolled: 1-line block ×5, first 2 shown]
	s_wait_alu 0xfffe
	v_mul_f64_e32 v[36:37], s[20:21], v[36:37]
	v_mul_f64_e32 v[58:59], s[16:17], v[44:45]
	v_mul_f64_e32 v[44:45], s[22:23], v[44:45]
	v_add_f64_e32 v[24:25], v[24:25], v[32:33]
	v_fma_f64 v[32:33], v[48:49], s[14:15], v[8:9]
	v_fma_f64 v[34:35], v[48:49], s[14:15], v[10:11]
	;; [unrolled: 1-line block ×8, first 2 shown]
	v_add_f64_e32 v[2:3], v[26:27], v[6:7]
	v_add_f64_e64 v[6:7], v[26:27], -v[6:7]
	v_fma_f64 v[28:29], v[52:53], s[18:19], v[42:43]
	v_fma_f64 v[52:53], v[52:53], s[2:3], v[60:61]
	;; [unrolled: 1-line block ×8, first 2 shown]
	v_add_f64_e32 v[0:1], v[24:25], v[4:5]
	v_add_f64_e64 v[4:5], v[24:25], -v[4:5]
	s_and_b32 s0, exec_lo, vcc_lo
	v_add_f64_e32 v[8:9], v[32:33], v[28:29]
	v_add_f64_e32 v[10:11], v[66:67], v[52:53]
	;; [unrolled: 1-line block ×8, first 2 shown]
	v_add_f64_e64 v[24:25], v[32:33], -v[28:29]
	v_add_f64_e64 v[26:27], v[66:67], -v[52:53]
	;; [unrolled: 1-line block ×8, first 2 shown]
	ds_store_b128 v143, v[0:3]
	ds_store_b128 v141, v[8:11] offset:544
	ds_store_b128 v141, v[12:15] offset:1088
	;; [unrolled: 1-line block ×9, first 2 shown]
	global_wb scope:SCOPE_SE
	s_wait_dscnt 0x0
	s_barrier_signal -1
	s_barrier_wait -1
	global_inv scope:SCOPE_SE
	scratch_load_b64 v[14:15], off, off offset:4 ; 8-byte Folded Reload
	s_wait_alu 0xfffe
	s_mov_b32 exec_lo, s0
	s_cbranch_execz .LBB0_15
; %bb.14:
	global_load_b128 v[0:3], v140, s[8:9]
	ds_load_b128 v[4:7], v143
	ds_load_b128 v[8:11], v141 offset:320
	scratch_load_b32 v15, off, off th:TH_LOAD_LU ; 4-byte Folded Reload
	s_mov_b32 s0, 0x18181818
	s_mov_b32 s1, 0x3f681818
	s_mul_u64 s[2:3], s[4:5], 0x140
	s_wait_loadcnt_dscnt 0x101
	v_mul_f64_e32 v[12:13], v[6:7], v[2:3]
	v_mul_f64_e32 v[2:3], v[4:5], v[2:3]
	s_delay_alu instid0(VALU_DEP_2) | instskip(NEXT) | instid1(VALU_DEP_2)
	v_fma_f64 v[4:5], v[4:5], v[0:1], v[12:13]
	v_fma_f64 v[0:1], v[0:1], v[6:7], -v[2:3]
	v_mad_co_u64_u32 v[6:7], null, s6, v14, 0
	s_wait_loadcnt 0x0
	v_mad_co_u64_u32 v[12:13], null, s4, v15, 0
	s_wait_alu 0xfffe
	s_delay_alu instid0(VALU_DEP_4) | instskip(NEXT) | instid1(VALU_DEP_4)
	v_mul_f64_e32 v[2:3], s[0:1], v[4:5]
	v_mul_f64_e32 v[4:5], s[0:1], v[0:1]
	s_delay_alu instid0(VALU_DEP_3) | instskip(NEXT) | instid1(VALU_DEP_1)
	v_dual_mov_b32 v0, v7 :: v_dual_mov_b32 v1, v13
	v_mad_co_u64_u32 v[13:14], null, s7, v14, v[0:1]
	s_delay_alu instid0(VALU_DEP_1) | instskip(SKIP_1) | instid1(VALU_DEP_1)
	v_mov_b32_e32 v7, v13
	v_mad_co_u64_u32 v[0:1], null, s5, v15, v[1:2]
	v_mov_b32_e32 v13, v0
	s_delay_alu instid0(VALU_DEP_3) | instskip(NEXT) | instid1(VALU_DEP_2)
	v_lshlrev_b64_e32 v[0:1], 4, v[6:7]
	v_lshlrev_b64_e32 v[6:7], 4, v[12:13]
	s_delay_alu instid0(VALU_DEP_2) | instskip(NEXT) | instid1(VALU_DEP_3)
	v_add_co_u32 v0, vcc_lo, s12, v0
	v_add_co_ci_u32_e32 v1, vcc_lo, s13, v1, vcc_lo
	s_delay_alu instid0(VALU_DEP_2) | instskip(SKIP_1) | instid1(VALU_DEP_2)
	v_add_co_u32 v6, vcc_lo, v0, v6
	s_wait_alu 0xfffd
	v_add_co_ci_u32_e32 v7, vcc_lo, v1, v7, vcc_lo
	s_delay_alu instid0(VALU_DEP_2)
	v_add_co_u32 v14, vcc_lo, v6, s2
	global_store_b128 v[6:7], v[2:5], off
	global_load_b128 v[2:5], v140, s[8:9] offset:320
	s_wait_alu 0xfffd
	v_add_co_ci_u32_e32 v15, vcc_lo, s3, v7, vcc_lo
	s_wait_loadcnt_dscnt 0x0
	v_mul_f64_e32 v[12:13], v[10:11], v[4:5]
	v_mul_f64_e32 v[4:5], v[8:9], v[4:5]
	s_delay_alu instid0(VALU_DEP_2) | instskip(NEXT) | instid1(VALU_DEP_2)
	v_fma_f64 v[8:9], v[8:9], v[2:3], v[12:13]
	v_fma_f64 v[4:5], v[2:3], v[10:11], -v[4:5]
	s_delay_alu instid0(VALU_DEP_2) | instskip(NEXT) | instid1(VALU_DEP_2)
	v_mul_f64_e32 v[2:3], s[0:1], v[8:9]
	v_mul_f64_e32 v[4:5], s[0:1], v[4:5]
	global_store_b128 v[14:15], v[2:5], off
	global_load_b128 v[2:5], v140, s[8:9] offset:640
	ds_load_b128 v[6:9], v141 offset:640
	ds_load_b128 v[10:13], v141 offset:960
	s_wait_loadcnt_dscnt 0x1
	v_mul_f64_e32 v[16:17], v[8:9], v[4:5]
	v_mul_f64_e32 v[4:5], v[6:7], v[4:5]
	s_delay_alu instid0(VALU_DEP_2) | instskip(NEXT) | instid1(VALU_DEP_2)
	v_fma_f64 v[6:7], v[6:7], v[2:3], v[16:17]
	v_fma_f64 v[4:5], v[2:3], v[8:9], -v[4:5]
	s_delay_alu instid0(VALU_DEP_2) | instskip(NEXT) | instid1(VALU_DEP_2)
	v_mul_f64_e32 v[2:3], s[0:1], v[6:7]
	v_mul_f64_e32 v[4:5], s[0:1], v[4:5]
	v_add_co_u32 v6, vcc_lo, v14, s2
	s_wait_alu 0xfffd
	v_add_co_ci_u32_e32 v7, vcc_lo, s3, v15, vcc_lo
	s_delay_alu instid0(VALU_DEP_2) | instskip(SKIP_1) | instid1(VALU_DEP_2)
	v_add_co_u32 v14, vcc_lo, v6, s2
	s_wait_alu 0xfffd
	v_add_co_ci_u32_e32 v15, vcc_lo, s3, v7, vcc_lo
	global_store_b128 v[6:7], v[2:5], off
	global_load_b128 v[2:5], v140, s[8:9] offset:960
	s_wait_loadcnt_dscnt 0x0
	v_mul_f64_e32 v[8:9], v[12:13], v[4:5]
	v_mul_f64_e32 v[4:5], v[10:11], v[4:5]
	s_delay_alu instid0(VALU_DEP_2) | instskip(NEXT) | instid1(VALU_DEP_2)
	v_fma_f64 v[8:9], v[10:11], v[2:3], v[8:9]
	v_fma_f64 v[4:5], v[2:3], v[12:13], -v[4:5]
	s_delay_alu instid0(VALU_DEP_2) | instskip(NEXT) | instid1(VALU_DEP_2)
	v_mul_f64_e32 v[2:3], s[0:1], v[8:9]
	v_mul_f64_e32 v[4:5], s[0:1], v[4:5]
	global_store_b128 v[14:15], v[2:5], off
	global_load_b128 v[2:5], v140, s[8:9] offset:1280
	ds_load_b128 v[6:9], v141 offset:1280
	ds_load_b128 v[10:13], v141 offset:1600
	s_wait_loadcnt_dscnt 0x1
	v_mul_f64_e32 v[16:17], v[8:9], v[4:5]
	v_mul_f64_e32 v[4:5], v[6:7], v[4:5]
	s_delay_alu instid0(VALU_DEP_2) | instskip(NEXT) | instid1(VALU_DEP_2)
	v_fma_f64 v[6:7], v[6:7], v[2:3], v[16:17]
	v_fma_f64 v[4:5], v[2:3], v[8:9], -v[4:5]
	s_delay_alu instid0(VALU_DEP_2) | instskip(NEXT) | instid1(VALU_DEP_2)
	v_mul_f64_e32 v[2:3], s[0:1], v[6:7]
	v_mul_f64_e32 v[4:5], s[0:1], v[4:5]
	v_add_co_u32 v6, vcc_lo, v14, s2
	s_wait_alu 0xfffd
	v_add_co_ci_u32_e32 v7, vcc_lo, s3, v15, vcc_lo
	s_delay_alu instid0(VALU_DEP_2) | instskip(SKIP_1) | instid1(VALU_DEP_2)
	v_add_co_u32 v14, vcc_lo, v6, s2
	s_wait_alu 0xfffd
	v_add_co_ci_u32_e32 v15, vcc_lo, s3, v7, vcc_lo
	global_store_b128 v[6:7], v[2:5], off
	global_load_b128 v[2:5], v140, s[8:9] offset:1600
	;; [unrolled: 31-line block ×3, first 2 shown]
	s_wait_loadcnt_dscnt 0x0
	v_mul_f64_e32 v[8:9], v[12:13], v[4:5]
	v_mul_f64_e32 v[4:5], v[10:11], v[4:5]
	s_delay_alu instid0(VALU_DEP_2) | instskip(NEXT) | instid1(VALU_DEP_2)
	v_fma_f64 v[8:9], v[10:11], v[2:3], v[8:9]
	v_fma_f64 v[4:5], v[2:3], v[12:13], -v[4:5]
	s_delay_alu instid0(VALU_DEP_2) | instskip(NEXT) | instid1(VALU_DEP_2)
	v_mul_f64_e32 v[2:3], s[0:1], v[8:9]
	v_mul_f64_e32 v[4:5], s[0:1], v[4:5]
	global_store_b128 v[14:15], v[2:5], off
	global_load_b128 v[2:5], v140, s[8:9] offset:2560
	ds_load_b128 v[6:9], v141 offset:2560
	ds_load_b128 v[10:13], v141 offset:2880
	v_mad_co_u64_u32 v[14:15], null, 0x280, s4, v[14:15]
	s_wait_loadcnt_dscnt 0x1
	v_mul_f64_e32 v[16:17], v[8:9], v[4:5]
	v_mul_f64_e32 v[4:5], v[6:7], v[4:5]
	s_delay_alu instid0(VALU_DEP_2) | instskip(NEXT) | instid1(VALU_DEP_2)
	v_fma_f64 v[6:7], v[6:7], v[2:3], v[16:17]
	v_fma_f64 v[4:5], v[2:3], v[8:9], -v[4:5]
	v_mad_co_u64_u32 v[8:9], null, s4, v255, 0
	s_delay_alu instid0(VALU_DEP_3) | instskip(NEXT) | instid1(VALU_DEP_3)
	v_mul_f64_e32 v[2:3], s[0:1], v[6:7]
	v_mul_f64_e32 v[4:5], s[0:1], v[4:5]
	s_delay_alu instid0(VALU_DEP_3) | instskip(NEXT) | instid1(VALU_DEP_1)
	v_mov_b32_e32 v6, v9
	v_mad_co_u64_u32 v[6:7], null, s5, v255, v[6:7]
	s_delay_alu instid0(VALU_DEP_1) | instskip(NEXT) | instid1(VALU_DEP_1)
	v_mov_b32_e32 v9, v6
	v_lshlrev_b64_e32 v[6:7], 4, v[8:9]
	s_delay_alu instid0(VALU_DEP_1) | instskip(SKIP_1) | instid1(VALU_DEP_2)
	v_add_co_u32 v6, vcc_lo, v0, v6
	s_wait_alu 0xfffd
	v_add_co_ci_u32_e32 v7, vcc_lo, v1, v7, vcc_lo
	global_store_b128 v[6:7], v[2:5], off
	global_load_b128 v[2:5], v140, s[8:9] offset:2880
	s_wait_loadcnt_dscnt 0x0
	v_mul_f64_e32 v[6:7], v[12:13], v[4:5]
	v_mul_f64_e32 v[4:5], v[10:11], v[4:5]
	s_delay_alu instid0(VALU_DEP_2) | instskip(NEXT) | instid1(VALU_DEP_2)
	v_fma_f64 v[6:7], v[10:11], v[2:3], v[6:7]
	v_fma_f64 v[4:5], v[2:3], v[12:13], -v[4:5]
	s_delay_alu instid0(VALU_DEP_2) | instskip(SKIP_1) | instid1(VALU_DEP_3)
	v_mul_f64_e32 v[2:3], s[0:1], v[6:7]
	v_mov_b32_e32 v6, v15
	v_mul_f64_e32 v[4:5], s[0:1], v[4:5]
	s_delay_alu instid0(VALU_DEP_2) | instskip(NEXT) | instid1(VALU_DEP_1)
	v_mad_co_u64_u32 v[6:7], null, 0x280, s5, v[6:7]
	v_mov_b32_e32 v15, v6
	global_store_b128 v[14:15], v[2:5], off
	global_load_b128 v[2:5], v140, s[8:9] offset:3200
	ds_load_b128 v[6:9], v141 offset:3200
	ds_load_b128 v[10:13], v141 offset:3520
	s_wait_loadcnt_dscnt 0x1
	v_mul_f64_e32 v[16:17], v[8:9], v[4:5]
	v_mul_f64_e32 v[4:5], v[6:7], v[4:5]
	s_delay_alu instid0(VALU_DEP_2) | instskip(NEXT) | instid1(VALU_DEP_2)
	v_fma_f64 v[6:7], v[6:7], v[2:3], v[16:17]
	v_fma_f64 v[4:5], v[2:3], v[8:9], -v[4:5]
	s_delay_alu instid0(VALU_DEP_2) | instskip(NEXT) | instid1(VALU_DEP_2)
	v_mul_f64_e32 v[2:3], s[0:1], v[6:7]
	v_mul_f64_e32 v[4:5], s[0:1], v[4:5]
	v_add_co_u32 v6, vcc_lo, v14, s2
	s_wait_alu 0xfffd
	v_add_co_ci_u32_e32 v7, vcc_lo, s3, v15, vcc_lo
	s_delay_alu instid0(VALU_DEP_2) | instskip(SKIP_1) | instid1(VALU_DEP_2)
	v_add_co_u32 v14, vcc_lo, v6, s2
	s_wait_alu 0xfffd
	v_add_co_ci_u32_e32 v15, vcc_lo, s3, v7, vcc_lo
	global_store_b128 v[6:7], v[2:5], off
	global_load_b128 v[2:5], v140, s[8:9] offset:3520
	s_wait_loadcnt_dscnt 0x0
	v_mul_f64_e32 v[8:9], v[12:13], v[4:5]
	v_mul_f64_e32 v[4:5], v[10:11], v[4:5]
	s_delay_alu instid0(VALU_DEP_2) | instskip(NEXT) | instid1(VALU_DEP_2)
	v_fma_f64 v[8:9], v[10:11], v[2:3], v[8:9]
	v_fma_f64 v[4:5], v[2:3], v[12:13], -v[4:5]
	s_delay_alu instid0(VALU_DEP_2) | instskip(NEXT) | instid1(VALU_DEP_2)
	v_mul_f64_e32 v[2:3], s[0:1], v[8:9]
	v_mul_f64_e32 v[4:5], s[0:1], v[4:5]
	global_store_b128 v[14:15], v[2:5], off
	global_load_b128 v[2:5], v140, s[8:9] offset:3840
	ds_load_b128 v[6:9], v141 offset:3840
	ds_load_b128 v[10:13], v141 offset:4160
	s_wait_loadcnt_dscnt 0x1
	v_mul_f64_e32 v[16:17], v[8:9], v[4:5]
	v_mul_f64_e32 v[4:5], v[6:7], v[4:5]
	s_delay_alu instid0(VALU_DEP_2) | instskip(NEXT) | instid1(VALU_DEP_2)
	v_fma_f64 v[6:7], v[6:7], v[2:3], v[16:17]
	v_fma_f64 v[4:5], v[2:3], v[8:9], -v[4:5]
	s_delay_alu instid0(VALU_DEP_2) | instskip(NEXT) | instid1(VALU_DEP_2)
	v_mul_f64_e32 v[2:3], s[0:1], v[6:7]
	v_mul_f64_e32 v[4:5], s[0:1], v[4:5]
	v_add_co_u32 v6, vcc_lo, v14, s2
	s_wait_alu 0xfffd
	v_add_co_ci_u32_e32 v7, vcc_lo, s3, v15, vcc_lo
	s_delay_alu instid0(VALU_DEP_2) | instskip(SKIP_1) | instid1(VALU_DEP_2)
	v_add_co_u32 v14, vcc_lo, v6, s2
	s_wait_alu 0xfffd
	v_add_co_ci_u32_e32 v15, vcc_lo, s3, v7, vcc_lo
	global_store_b128 v[6:7], v[2:5], off
	global_load_b128 v[2:5], v140, s[8:9] offset:4160
	s_wait_loadcnt_dscnt 0x0
	v_mul_f64_e32 v[8:9], v[12:13], v[4:5]
	v_mul_f64_e32 v[4:5], v[10:11], v[4:5]
	s_delay_alu instid0(VALU_DEP_2) | instskip(NEXT) | instid1(VALU_DEP_2)
	v_fma_f64 v[8:9], v[10:11], v[2:3], v[8:9]
	v_fma_f64 v[4:5], v[2:3], v[12:13], -v[4:5]
	s_delay_alu instid0(VALU_DEP_2) | instskip(NEXT) | instid1(VALU_DEP_2)
	v_mul_f64_e32 v[2:3], s[0:1], v[8:9]
	v_mul_f64_e32 v[4:5], s[0:1], v[4:5]
	global_store_b128 v[14:15], v[2:5], off
	global_load_b128 v[2:5], v140, s[8:9] offset:4480
	ds_load_b128 v[6:9], v141 offset:4480
	ds_load_b128 v[10:13], v141 offset:4800
	s_wait_loadcnt_dscnt 0x1
	v_mul_f64_e32 v[16:17], v[8:9], v[4:5]
	v_mul_f64_e32 v[4:5], v[6:7], v[4:5]
	s_delay_alu instid0(VALU_DEP_2) | instskip(NEXT) | instid1(VALU_DEP_2)
	v_fma_f64 v[6:7], v[6:7], v[2:3], v[16:17]
	v_fma_f64 v[4:5], v[2:3], v[8:9], -v[4:5]
	s_delay_alu instid0(VALU_DEP_2) | instskip(NEXT) | instid1(VALU_DEP_2)
	v_mul_f64_e32 v[2:3], s[0:1], v[6:7]
	v_mul_f64_e32 v[4:5], s[0:1], v[4:5]
	v_add_co_u32 v6, vcc_lo, v14, s2
	s_wait_alu 0xfffd
	v_add_co_ci_u32_e32 v7, vcc_lo, s3, v15, vcc_lo
	global_store_b128 v[6:7], v[2:5], off
	global_load_b128 v[2:5], v140, s[8:9] offset:4800
	v_add_co_u32 v6, vcc_lo, v6, s2
	s_wait_alu 0xfffd
	v_add_co_ci_u32_e32 v7, vcc_lo, s3, v7, vcc_lo
	s_wait_loadcnt_dscnt 0x0
	v_mul_f64_e32 v[8:9], v[12:13], v[4:5]
	v_mul_f64_e32 v[4:5], v[10:11], v[4:5]
	s_delay_alu instid0(VALU_DEP_2) | instskip(NEXT) | instid1(VALU_DEP_2)
	v_fma_f64 v[8:9], v[10:11], v[2:3], v[8:9]
	v_fma_f64 v[4:5], v[2:3], v[12:13], -v[4:5]
	s_delay_alu instid0(VALU_DEP_2) | instskip(NEXT) | instid1(VALU_DEP_2)
	v_mul_f64_e32 v[2:3], s[0:1], v[8:9]
	v_mul_f64_e32 v[4:5], s[0:1], v[4:5]
	global_store_b128 v[6:7], v[2:5], off
	global_load_b128 v[2:5], v140, s[8:9] offset:5120
	ds_load_b128 v[6:9], v141 offset:5120
	s_wait_loadcnt_dscnt 0x0
	v_mul_f64_e32 v[10:11], v[8:9], v[4:5]
	v_mul_f64_e32 v[4:5], v[6:7], v[4:5]
	s_delay_alu instid0(VALU_DEP_2) | instskip(NEXT) | instid1(VALU_DEP_2)
	v_fma_f64 v[6:7], v[6:7], v[2:3], v[10:11]
	v_fma_f64 v[4:5], v[2:3], v[8:9], -v[4:5]
	v_mad_co_u64_u32 v[8:9], null, s4, v191, 0
	s_delay_alu instid0(VALU_DEP_3) | instskip(NEXT) | instid1(VALU_DEP_2)
	v_mul_f64_e32 v[2:3], s[0:1], v[6:7]
	v_mov_b32_e32 v6, v9
	s_delay_alu instid0(VALU_DEP_4) | instskip(NEXT) | instid1(VALU_DEP_2)
	v_mul_f64_e32 v[4:5], s[0:1], v[4:5]
	v_mad_co_u64_u32 v[6:7], null, s5, v191, v[6:7]
	s_delay_alu instid0(VALU_DEP_1) | instskip(NEXT) | instid1(VALU_DEP_1)
	v_mov_b32_e32 v9, v6
	v_lshlrev_b64_e32 v[6:7], 4, v[8:9]
	s_delay_alu instid0(VALU_DEP_1) | instskip(SKIP_1) | instid1(VALU_DEP_2)
	v_add_co_u32 v0, vcc_lo, v0, v6
	s_wait_alu 0xfffd
	v_add_co_ci_u32_e32 v1, vcc_lo, v1, v7, vcc_lo
	global_store_b128 v[0:1], v[2:5], off
.LBB0_15:
	s_nop 0
	s_sendmsg sendmsg(MSG_DEALLOC_VGPRS)
	s_endpgm
	.section	.rodata,"a",@progbits
	.p2align	6, 0x0
	.amdhsa_kernel bluestein_single_back_len340_dim1_dp_op_CI_CI
		.amdhsa_group_segment_fixed_size 16320
		.amdhsa_private_segment_fixed_size 616
		.amdhsa_kernarg_size 104
		.amdhsa_user_sgpr_count 2
		.amdhsa_user_sgpr_dispatch_ptr 0
		.amdhsa_user_sgpr_queue_ptr 0
		.amdhsa_user_sgpr_kernarg_segment_ptr 1
		.amdhsa_user_sgpr_dispatch_id 0
		.amdhsa_user_sgpr_private_segment_size 0
		.amdhsa_wavefront_size32 1
		.amdhsa_uses_dynamic_stack 0
		.amdhsa_enable_private_segment 1
		.amdhsa_system_sgpr_workgroup_id_x 1
		.amdhsa_system_sgpr_workgroup_id_y 0
		.amdhsa_system_sgpr_workgroup_id_z 0
		.amdhsa_system_sgpr_workgroup_info 0
		.amdhsa_system_vgpr_workitem_id 0
		.amdhsa_next_free_vgpr 256
		.amdhsa_next_free_sgpr 58
		.amdhsa_reserve_vcc 1
		.amdhsa_float_round_mode_32 0
		.amdhsa_float_round_mode_16_64 0
		.amdhsa_float_denorm_mode_32 3
		.amdhsa_float_denorm_mode_16_64 3
		.amdhsa_fp16_overflow 0
		.amdhsa_workgroup_processor_mode 1
		.amdhsa_memory_ordered 1
		.amdhsa_forward_progress 0
		.amdhsa_round_robin_scheduling 0
		.amdhsa_exception_fp_ieee_invalid_op 0
		.amdhsa_exception_fp_denorm_src 0
		.amdhsa_exception_fp_ieee_div_zero 0
		.amdhsa_exception_fp_ieee_overflow 0
		.amdhsa_exception_fp_ieee_underflow 0
		.amdhsa_exception_fp_ieee_inexact 0
		.amdhsa_exception_int_div_zero 0
	.end_amdhsa_kernel
	.text
.Lfunc_end0:
	.size	bluestein_single_back_len340_dim1_dp_op_CI_CI, .Lfunc_end0-bluestein_single_back_len340_dim1_dp_op_CI_CI
                                        ; -- End function
	.section	.AMDGPU.csdata,"",@progbits
; Kernel info:
; codeLenInByte = 23428
; NumSgprs: 60
; NumVgprs: 256
; ScratchSize: 616
; MemoryBound: 0
; FloatMode: 240
; IeeeMode: 1
; LDSByteSize: 16320 bytes/workgroup (compile time only)
; SGPRBlocks: 7
; VGPRBlocks: 31
; NumSGPRsForWavesPerEU: 60
; NumVGPRsForWavesPerEU: 256
; Occupancy: 5
; WaveLimiterHint : 1
; COMPUTE_PGM_RSRC2:SCRATCH_EN: 1
; COMPUTE_PGM_RSRC2:USER_SGPR: 2
; COMPUTE_PGM_RSRC2:TRAP_HANDLER: 0
; COMPUTE_PGM_RSRC2:TGID_X_EN: 1
; COMPUTE_PGM_RSRC2:TGID_Y_EN: 0
; COMPUTE_PGM_RSRC2:TGID_Z_EN: 0
; COMPUTE_PGM_RSRC2:TIDIG_COMP_CNT: 0
	.text
	.p2alignl 7, 3214868480
	.fill 96, 4, 3214868480
	.type	__hip_cuid_6347652643fa119b,@object ; @__hip_cuid_6347652643fa119b
	.section	.bss,"aw",@nobits
	.globl	__hip_cuid_6347652643fa119b
__hip_cuid_6347652643fa119b:
	.byte	0                               ; 0x0
	.size	__hip_cuid_6347652643fa119b, 1

	.ident	"AMD clang version 19.0.0git (https://github.com/RadeonOpenCompute/llvm-project roc-6.4.0 25133 c7fe45cf4b819c5991fe208aaa96edf142730f1d)"
	.section	".note.GNU-stack","",@progbits
	.addrsig
	.addrsig_sym __hip_cuid_6347652643fa119b
	.amdgpu_metadata
---
amdhsa.kernels:
  - .args:
      - .actual_access:  read_only
        .address_space:  global
        .offset:         0
        .size:           8
        .value_kind:     global_buffer
      - .actual_access:  read_only
        .address_space:  global
        .offset:         8
        .size:           8
        .value_kind:     global_buffer
      - .actual_access:  read_only
        .address_space:  global
        .offset:         16
        .size:           8
        .value_kind:     global_buffer
      - .actual_access:  read_only
        .address_space:  global
        .offset:         24
        .size:           8
        .value_kind:     global_buffer
      - .actual_access:  read_only
        .address_space:  global
        .offset:         32
        .size:           8
        .value_kind:     global_buffer
      - .offset:         40
        .size:           8
        .value_kind:     by_value
      - .address_space:  global
        .offset:         48
        .size:           8
        .value_kind:     global_buffer
      - .address_space:  global
        .offset:         56
        .size:           8
        .value_kind:     global_buffer
      - .address_space:  global
        .offset:         64
        .size:           8
        .value_kind:     global_buffer
      - .address_space:  global
        .offset:         72
        .size:           8
        .value_kind:     global_buffer
      - .offset:         80
        .size:           4
        .value_kind:     by_value
      - .address_space:  global
        .offset:         88
        .size:           8
        .value_kind:     global_buffer
      - .address_space:  global
        .offset:         96
        .size:           8
        .value_kind:     global_buffer
    .group_segment_fixed_size: 16320
    .kernarg_segment_align: 8
    .kernarg_segment_size: 104
    .language:       OpenCL C
    .language_version:
      - 2
      - 0
    .max_flat_workgroup_size: 102
    .name:           bluestein_single_back_len340_dim1_dp_op_CI_CI
    .private_segment_fixed_size: 616
    .sgpr_count:     60
    .sgpr_spill_count: 0
    .symbol:         bluestein_single_back_len340_dim1_dp_op_CI_CI.kd
    .uniform_work_group_size: 1
    .uses_dynamic_stack: false
    .vgpr_count:     256
    .vgpr_spill_count: 218
    .wavefront_size: 32
    .workgroup_processor_mode: 1
amdhsa.target:   amdgcn-amd-amdhsa--gfx1201
amdhsa.version:
  - 1
  - 2
...

	.end_amdgpu_metadata
